;; amdgpu-corpus repo=pytorch/pytorch kind=compiled arch=gfx906 opt=O3
	.amdgcn_target "amdgcn-amd-amdhsa--gfx906"
	.amdhsa_code_object_version 6
	.section	.text._ZN7rocprim17ROCPRIM_304000_NS6detail28radix_sort_block_sort_kernelINS1_36wrapped_radix_sort_block_sort_configINS0_13kernel_configILj256ELj4ELj4294967295EEEtN2at4cuda3cub6detail10OpaqueTypeILi8EEEEELb1EPKtPtPKSB_PSB_NS0_19identity_decomposerEEEvT1_T2_T3_T4_jT5_jj,"axG",@progbits,_ZN7rocprim17ROCPRIM_304000_NS6detail28radix_sort_block_sort_kernelINS1_36wrapped_radix_sort_block_sort_configINS0_13kernel_configILj256ELj4ELj4294967295EEEtN2at4cuda3cub6detail10OpaqueTypeILi8EEEEELb1EPKtPtPKSB_PSB_NS0_19identity_decomposerEEEvT1_T2_T3_T4_jT5_jj,comdat
	.protected	_ZN7rocprim17ROCPRIM_304000_NS6detail28radix_sort_block_sort_kernelINS1_36wrapped_radix_sort_block_sort_configINS0_13kernel_configILj256ELj4ELj4294967295EEEtN2at4cuda3cub6detail10OpaqueTypeILi8EEEEELb1EPKtPtPKSB_PSB_NS0_19identity_decomposerEEEvT1_T2_T3_T4_jT5_jj ; -- Begin function _ZN7rocprim17ROCPRIM_304000_NS6detail28radix_sort_block_sort_kernelINS1_36wrapped_radix_sort_block_sort_configINS0_13kernel_configILj256ELj4ELj4294967295EEEtN2at4cuda3cub6detail10OpaqueTypeILi8EEEEELb1EPKtPtPKSB_PSB_NS0_19identity_decomposerEEEvT1_T2_T3_T4_jT5_jj
	.globl	_ZN7rocprim17ROCPRIM_304000_NS6detail28radix_sort_block_sort_kernelINS1_36wrapped_radix_sort_block_sort_configINS0_13kernel_configILj256ELj4ELj4294967295EEEtN2at4cuda3cub6detail10OpaqueTypeILi8EEEEELb1EPKtPtPKSB_PSB_NS0_19identity_decomposerEEEvT1_T2_T3_T4_jT5_jj
	.p2align	8
	.type	_ZN7rocprim17ROCPRIM_304000_NS6detail28radix_sort_block_sort_kernelINS1_36wrapped_radix_sort_block_sort_configINS0_13kernel_configILj256ELj4ELj4294967295EEEtN2at4cuda3cub6detail10OpaqueTypeILi8EEEEELb1EPKtPtPKSB_PSB_NS0_19identity_decomposerEEEvT1_T2_T3_T4_jT5_jj,@function
_ZN7rocprim17ROCPRIM_304000_NS6detail28radix_sort_block_sort_kernelINS1_36wrapped_radix_sort_block_sort_configINS0_13kernel_configILj256ELj4ELj4294967295EEEtN2at4cuda3cub6detail10OpaqueTypeILi8EEEEELb1EPKtPtPKSB_PSB_NS0_19identity_decomposerEEEvT1_T2_T3_T4_jT5_jj: ; @_ZN7rocprim17ROCPRIM_304000_NS6detail28radix_sort_block_sort_kernelINS1_36wrapped_radix_sort_block_sort_configINS0_13kernel_configILj256ELj4ELj4294967295EEEtN2at4cuda3cub6detail10OpaqueTypeILi8EEEEELb1EPKtPtPKSB_PSB_NS0_19identity_decomposerEEEvT1_T2_T3_T4_jT5_jj
; %bb.0:
	s_load_dword s2, s[4:5], 0x20
	s_load_dwordx8 s[36:43], s[4:5], 0x0
	s_lshl_b32 s28, s6, 10
	s_mov_b32 s29, 0
	v_mbcnt_lo_u32_b32 v3, -1, 0
	s_waitcnt lgkmcnt(0)
	s_lshr_b32 s0, s2, 10
	s_cmp_lg_u32 s6, s0
	s_cselect_b64 s[30:31], -1, 0
	s_lshl_b64 s[34:35], s[28:29], 1
	s_add_u32 s1, s36, s34
	v_mbcnt_hi_u32_b32 v9, -1, v3
	s_addc_u32 s3, s37, s35
	v_lshlrev_b32_e32 v10, 2, v0
	v_lshlrev_b32_e32 v3, 1, v9
	v_and_b32_e32 v11, 0x300, v10
	v_mov_b32_e32 v4, s3
	v_add_co_u32_e32 v3, vcc, s1, v3
	v_addc_co_u32_e32 v4, vcc, 0, v4, vcc
	v_lshlrev_b32_e32 v5, 1, v11
	v_add_co_u32_e32 v7, vcc, v3, v5
	s_cmp_eq_u32 s6, s0
	v_addc_co_u32_e32 v8, vcc, 0, v4, vcc
	v_lshlrev_b32_e32 v16, 3, v9
	v_lshlrev_b32_e32 v15, 3, v11
	v_add_u32_e32 v12, v9, v11
	s_cbranch_scc1 .LBB0_2
; %bb.1:
	s_lshl_b64 s[0:1], s[28:29], 3
	s_add_u32 s0, s40, s0
	s_addc_u32 s1, s41, s1
	v_mov_b32_e32 v3, s1
	v_add_co_u32_e32 v4, vcc, s0, v16
	v_addc_co_u32_e32 v3, vcc, 0, v3, vcc
	v_add_co_u32_e32 v5, vcc, v4, v15
	v_addc_co_u32_e32 v6, vcc, 0, v3, vcc
	global_load_ushort v13, v[7:8], off
	global_load_ushort v14, v[7:8], off offset:128
	global_load_ushort v17, v[7:8], off offset:256
	;; [unrolled: 1-line block ×3, first 2 shown]
	global_load_dwordx2 v[3:4], v[5:6], off
	global_load_dwordx2 v[18:19], v[5:6], off offset:512
	global_load_dwordx2 v[20:21], v[5:6], off offset:1024
	global_load_dwordx2 v[22:23], v[5:6], off offset:1536
	s_mov_b32 s0, 0x5040100
	s_waitcnt vmcnt(6)
	v_perm_b32 v5, v14, v13, s0
	s_waitcnt vmcnt(4)
	v_perm_b32 v6, v24, v17, s0
	v_add_u32_e32 v17, v9, v11
	v_add_u32_e32 v11, 64, v17
	;; [unrolled: 1-line block ×4, first 2 shown]
	s_sub_i32 s33, s2, s28
	s_cbranch_execz .LBB0_3
	s_branch .LBB0_17
.LBB0_2:
                                        ; implicit-def: $vgpr5_vgpr6
                                        ; implicit-def: $vgpr3_vgpr4
                                        ; implicit-def: $vgpr18_vgpr19
                                        ; implicit-def: $vgpr20_vgpr21
                                        ; implicit-def: $vgpr22_vgpr23
                                        ; implicit-def: $vgpr17
                                        ; implicit-def: $vgpr11
                                        ; implicit-def: $vgpr13
                                        ; implicit-def: $vgpr14
	s_sub_i32 s33, s2, s28
.LBB0_3:
	v_mov_b32_e32 v5, 0
	v_cmp_gt_u32_e32 vcc, s33, v12
	v_mov_b32_e32 v6, v5
	s_and_saveexec_b64 s[0:1], vcc
	s_cbranch_execz .LBB0_5
; %bb.4:
	global_load_ushort v3, v[7:8], off
	s_waitcnt vmcnt(4)
	v_mov_b32_e32 v4, v5
	s_waitcnt vmcnt(0)
	v_and_b32_e32 v3, 0xffff, v3
	v_mov_b32_e32 v6, v4
	v_mov_b32_e32 v5, v3
.LBB0_5:
	s_or_b64 exec, exec, s[0:1]
	v_add_u32_e32 v11, 64, v12
	v_cmp_gt_u32_e64 s[0:1], s33, v11
	s_and_saveexec_b64 s[2:3], s[0:1]
	s_cbranch_execz .LBB0_7
; %bb.6:
	global_load_ushort v3, v[7:8], off offset:128
	s_mov_b32 s6, 0x5040100
	s_waitcnt vmcnt(0)
	v_perm_b32 v5, v3, v5, s6
.LBB0_7:
	s_or_b64 exec, exec, s[2:3]
	v_add_u32_e32 v13, 0x80, v12
	v_cmp_gt_u32_e64 s[2:3], s33, v13
	s_and_saveexec_b64 s[6:7], s[2:3]
	s_cbranch_execz .LBB0_9
; %bb.8:
	global_load_ushort v3, v[7:8], off offset:256
	s_mov_b32 s8, 0xffff
	s_waitcnt vmcnt(0)
	v_bfi_b32 v6, s8, v3, v6
.LBB0_9:
	s_or_b64 exec, exec, s[6:7]
	v_add_u32_e32 v14, 0xc0, v12
	v_cmp_gt_u32_e64 s[6:7], s33, v14
	s_and_saveexec_b64 s[8:9], s[6:7]
	s_cbranch_execz .LBB0_11
; %bb.10:
	global_load_ushort v3, v[7:8], off offset:384
	s_mov_b32 s10, 0x5040100
	s_waitcnt vmcnt(0)
	v_perm_b32 v6, v3, v6, s10
.LBB0_11:
	s_or_b64 exec, exec, s[8:9]
	s_lshl_b64 s[8:9], s[28:29], 3
	s_add_u32 s8, s40, s8
	s_addc_u32 s9, s41, s9
	s_waitcnt vmcnt(3)
	v_mov_b32_e32 v3, s9
	v_add_co_u32_e64 v4, s[8:9], s8, v16
	v_addc_co_u32_e64 v3, s[8:9], 0, v3, s[8:9]
	v_add_co_u32_e64 v7, s[8:9], v4, v15
	v_addc_co_u32_e64 v8, s[8:9], 0, v3, s[8:9]
                                        ; implicit-def: $vgpr3_vgpr4
	s_and_saveexec_b64 s[8:9], vcc
	s_cbranch_execnz .LBB0_54
; %bb.12:
	s_or_b64 exec, exec, s[8:9]
                                        ; implicit-def: $vgpr18_vgpr19
	s_and_saveexec_b64 s[8:9], s[0:1]
	s_cbranch_execnz .LBB0_55
.LBB0_13:
	s_or_b64 exec, exec, s[8:9]
                                        ; implicit-def: $vgpr20_vgpr21
	s_and_saveexec_b64 s[0:1], s[2:3]
	s_cbranch_execnz .LBB0_56
.LBB0_14:
	s_or_b64 exec, exec, s[0:1]
                                        ; implicit-def: $vgpr22_vgpr23
	s_and_saveexec_b64 s[0:1], s[6:7]
	s_cbranch_execz .LBB0_16
.LBB0_15:
	global_load_dwordx2 v[22:23], v[7:8], off offset:1536
.LBB0_16:
	s_or_b64 exec, exec, s[0:1]
	v_mov_b32_e32 v17, v12
.LBB0_17:
	s_load_dwordx2 s[36:37], s[4:5], 0x28
	s_load_dword s0, s[4:5], 0x3c
	v_mov_b32_e32 v8, -1
	v_xor_b32_e32 v7, -1, v6
	v_xor_b32_sdwa v6, v6, v8 dst_sel:DWORD dst_unused:UNUSED_PAD src0_sel:WORD_1 src1_sel:DWORD
	v_lshlrev_b32_e32 v25, 2, v10
	s_waitcnt lgkmcnt(0)
	s_lshr_b32 s1, s0, 16
	s_and_b32 s0, s0, 0xffff
	v_mad_u32_u24 v1, v2, s1, v1
	v_mad_u64_u32 v[1:2], s[0:1], v1, s0, v[0:1]
	v_xor_b32_e32 v2, -1, v5
	v_xor_b32_sdwa v5, v5, v8 dst_sel:DWORD dst_unused:UNUSED_PAD src0_sel:WORD_1 src1_sel:DWORD
	v_lshrrev_b32_e32 v1, 4, v1
	v_and_b32_e32 v26, 0xffffffc, v1
	v_and_b32_e32 v1, 15, v9
	v_cmp_eq_u32_e64 s[0:1], 0, v1
	v_cmp_lt_u32_e64 s[2:3], 1, v1
	v_cmp_lt_u32_e64 s[4:5], 3, v1
	;; [unrolled: 1-line block ×3, first 2 shown]
	v_and_b32_e32 v1, 16, v9
	v_cmp_eq_u32_e64 s[8:9], 0, v1
	v_or_b32_e32 v1, 63, v0
	v_cmp_eq_u32_e64 s[12:13], v0, v1
	v_subrev_co_u32_e64 v1, s[18:19], 1, v9
	v_and_b32_e32 v8, 64, v9
	v_cmp_lt_i32_e32 vcc, v1, v8
	v_and_b32_e32 v8, 3, v9
	v_cmp_lt_u32_e64 s[10:11], 31, v9
	v_cndmask_b32_e32 v1, v1, v9, vcc
	v_cmp_eq_u32_e64 s[22:23], 0, v8
	v_cmp_lt_u32_e64 s[24:25], 1, v8
	v_lshlrev_b32_e32 v31, 1, v11
	v_mul_lo_u32 v8, v17, 6
	v_mul_lo_u32 v9, v11, 6
	;; [unrolled: 1-line block ×4, first 2 shown]
	s_mov_b32 s26, 0
	v_lshlrev_b32_e32 v27, 2, v1
	v_lshrrev_b32_e32 v1, 4, v0
	s_mov_b32 s44, s26
	v_and_b32_e32 v28, 12, v1
	v_mul_i32_i24_e32 v1, -12, v0
	v_lshlrev_b32_e32 v30, 1, v17
	v_lshlrev_b32_e32 v32, 1, v13
	;; [unrolled: 1-line block ×3, first 2 shown]
	s_mov_b32 s41, 0x5040100
	s_mov_b32 s27, s26
	;; [unrolled: 1-line block ×3, first 2 shown]
	v_mov_b32_e32 v13, s26
	v_mov_b32_e32 v15, s44
	s_add_i32 s40, s37, s36
	v_cmp_gt_u32_e64 s[14:15], 4, v0
	v_cmp_lt_u32_e64 s[16:17], 63, v0
	v_cmp_eq_u32_e64 s[20:21], 0, v0
	v_add_u32_e32 v29, -4, v28
	v_perm_b32 v40, v5, v2, s41
	v_perm_b32 v49, v6, v7, s41
	v_mov_b32_e32 v14, s27
	v_mov_b32_e32 v16, s45
	;; [unrolled: 1-line block ×3, first 2 shown]
	v_add_u32_e32 v34, v25, v1
	v_add_u32_e32 v35, v30, v8
	v_add_u32_e32 v36, v31, v9
	v_add_u32_e32 v37, v32, v10
	v_add_u32_e32 v38, v33, v11
	s_branch .LBB0_19
.LBB0_18:                               ;   in Loop: Header=BB0_19 Depth=1
	s_andn2_b64 vcc, exec, s[26:27]
	s_cbranch_vccz .LBB0_35
.LBB0_19:                               ; =>This Inner Loop Header: Depth=1
	s_min_u32 s26, s37, 8
	s_lshl_b32 s26, -1, s26
	s_not_b32 s44, s26
	v_lshrrev_b32_sdwa v1, s36, v40 dst_sel:DWORD dst_unused:UNUSED_PAD src0_sel:DWORD src1_sel:WORD_0
	v_and_b32_e32 v1, s44, v1
	s_waitcnt vmcnt(0)
	v_mov_b32_e32 v12, v4
	v_and_b32_e32 v2, 1, v1
	v_mov_b32_e32 v11, v3
	v_mov_b32_e32 v9, v18
	v_add_co_u32_e32 v4, vcc, -1, v2
	v_mov_b32_e32 v10, v19
	v_addc_co_u32_e64 v18, s[26:27], 0, -1, vcc
	v_cmp_ne_u32_e32 vcc, 0, v2
	v_xor_b32_e32 v2, vcc_hi, v18
	v_lshlrev_b32_e32 v18, 30, v1
	v_xor_b32_e32 v4, vcc_lo, v4
	v_cmp_gt_i64_e32 vcc, 0, v[17:18]
	v_not_b32_e32 v18, v18
	v_ashrrev_i32_e32 v18, 31, v18
	v_and_b32_e32 v4, exec_lo, v4
	v_xor_b32_e32 v19, vcc_hi, v18
	v_xor_b32_e32 v18, vcc_lo, v18
	v_and_b32_e32 v4, v4, v18
	v_lshlrev_b32_e32 v18, 29, v1
	v_cmp_gt_i64_e32 vcc, 0, v[17:18]
	v_not_b32_e32 v18, v18
	v_and_b32_e32 v2, exec_hi, v2
	v_ashrrev_i32_e32 v18, 31, v18
	v_and_b32_e32 v2, v2, v19
	v_xor_b32_e32 v19, vcc_hi, v18
	v_xor_b32_e32 v18, vcc_lo, v18
	v_and_b32_e32 v4, v4, v18
	v_lshlrev_b32_e32 v18, 28, v1
	v_cmp_gt_i64_e32 vcc, 0, v[17:18]
	v_not_b32_e32 v18, v18
	v_ashrrev_i32_e32 v18, 31, v18
	v_and_b32_e32 v2, v2, v19
	v_xor_b32_e32 v19, vcc_hi, v18
	v_xor_b32_e32 v18, vcc_lo, v18
	v_and_b32_e32 v4, v4, v18
	v_lshlrev_b32_e32 v18, 27, v1
	v_cmp_gt_i64_e32 vcc, 0, v[17:18]
	v_not_b32_e32 v18, v18
	;; [unrolled: 8-line block ×4, first 2 shown]
	v_ashrrev_i32_e32 v18, 31, v18
	v_and_b32_e32 v2, v2, v19
	v_xor_b32_e32 v19, vcc_hi, v18
	v_xor_b32_e32 v18, vcc_lo, v18
	v_and_b32_e32 v4, v4, v18
	v_lshlrev_b32_e32 v18, 24, v1
	v_lshlrev_b32_e32 v3, 4, v1
	v_cmp_gt_i64_e32 vcc, 0, v[17:18]
	v_not_b32_e32 v1, v18
	v_ashrrev_i32_e32 v1, 31, v1
	v_xor_b32_e32 v18, vcc_hi, v1
	v_xor_b32_e32 v1, vcc_lo, v1
	v_and_b32_e32 v2, v2, v19
	v_and_b32_e32 v1, v4, v1
	;; [unrolled: 1-line block ×3, first 2 shown]
	v_mbcnt_lo_u32_b32 v4, v1, 0
	v_mbcnt_hi_u32_b32 v19, v2, v4
	v_cmp_ne_u64_e32 vcc, 0, v[1:2]
	v_mov_b32_e32 v7, v20
	v_mov_b32_e32 v5, v22
	v_cmp_eq_u32_e64 s[26:27], 0, v19
	v_mov_b32_e32 v39, v49
	v_mov_b32_e32 v8, v21
	;; [unrolled: 1-line block ×3, first 2 shown]
	s_and_b64 s[46:47], vcc, s[26:27]
	v_add_u32_e32 v20, v26, v3
	ds_write2_b64 v25, v[13:14], v[15:16] offset0:2 offset1:3
	s_waitcnt lgkmcnt(0)
	s_barrier
	; wave barrier
	s_and_saveexec_b64 s[26:27], s[46:47]
; %bb.20:                               ;   in Loop: Header=BB0_19 Depth=1
	v_bcnt_u32_b32 v1, v1, 0
	v_bcnt_u32_b32 v1, v2, v1
	ds_write_b32 v20, v1 offset:16
; %bb.21:                               ;   in Loop: Header=BB0_19 Depth=1
	s_or_b64 exec, exec, s[26:27]
	v_lshrrev_b32_e32 v41, 16, v40
	v_lshrrev_b32_e32 v1, s36, v41
	v_and_b32_e32 v1, s44, v1
	v_lshlrev_b32_e32 v2, 4, v1
	v_add_u32_e32 v22, v26, v2
	v_and_b32_e32 v2, 1, v1
	v_add_co_u32_e32 v3, vcc, -1, v2
	v_addc_co_u32_e64 v4, s[26:27], 0, -1, vcc
	v_cmp_ne_u32_e32 vcc, 0, v2
	v_lshlrev_b32_e32 v18, 30, v1
	v_xor_b32_e32 v2, vcc_hi, v4
	v_xor_b32_e32 v3, vcc_lo, v3
	v_cmp_gt_i64_e32 vcc, 0, v[17:18]
	v_not_b32_e32 v4, v18
	v_ashrrev_i32_e32 v4, 31, v4
	v_and_b32_e32 v2, exec_hi, v2
	v_xor_b32_e32 v18, vcc_hi, v4
	v_and_b32_e32 v3, exec_lo, v3
	v_xor_b32_e32 v4, vcc_lo, v4
	v_and_b32_e32 v2, v2, v18
	v_lshlrev_b32_e32 v18, 29, v1
	v_and_b32_e32 v3, v3, v4
	v_cmp_gt_i64_e32 vcc, 0, v[17:18]
	v_not_b32_e32 v4, v18
	v_ashrrev_i32_e32 v4, 31, v4
	v_xor_b32_e32 v18, vcc_hi, v4
	v_xor_b32_e32 v4, vcc_lo, v4
	v_and_b32_e32 v2, v2, v18
	v_lshlrev_b32_e32 v18, 28, v1
	v_and_b32_e32 v3, v3, v4
	v_cmp_gt_i64_e32 vcc, 0, v[17:18]
	v_not_b32_e32 v4, v18
	v_ashrrev_i32_e32 v4, 31, v4
	v_xor_b32_e32 v18, vcc_hi, v4
	;; [unrolled: 8-line block ×5, first 2 shown]
	v_and_b32_e32 v2, v2, v18
	v_lshlrev_b32_e32 v18, 24, v1
	v_xor_b32_e32 v4, vcc_lo, v4
	v_cmp_gt_i64_e32 vcc, 0, v[17:18]
	v_not_b32_e32 v1, v18
	v_ashrrev_i32_e32 v1, 31, v1
	v_and_b32_e32 v3, v3, v4
	v_xor_b32_e32 v4, vcc_hi, v1
	v_xor_b32_e32 v1, vcc_lo, v1
	; wave barrier
	ds_read_b32 v21, v22 offset:16
	v_and_b32_e32 v1, v3, v1
	v_and_b32_e32 v2, v2, v4
	v_mbcnt_lo_u32_b32 v3, v1, 0
	v_mbcnt_hi_u32_b32 v23, v2, v3
	v_cmp_ne_u64_e32 vcc, 0, v[1:2]
	v_cmp_eq_u32_e64 s[26:27], 0, v23
	s_and_b64 s[46:47], vcc, s[26:27]
	; wave barrier
	s_and_saveexec_b64 s[26:27], s[46:47]
	s_cbranch_execz .LBB0_23
; %bb.22:                               ;   in Loop: Header=BB0_19 Depth=1
	v_bcnt_u32_b32 v1, v1, 0
	v_bcnt_u32_b32 v1, v2, v1
	s_waitcnt lgkmcnt(0)
	v_add_u32_e32 v1, v21, v1
	ds_write_b32 v22, v1 offset:16
.LBB0_23:                               ;   in Loop: Header=BB0_19 Depth=1
	s_or_b64 exec, exec, s[26:27]
	v_lshrrev_b32_sdwa v1, s36, v39 dst_sel:DWORD dst_unused:UNUSED_PAD src0_sel:DWORD src1_sel:WORD_0
	v_and_b32_e32 v1, s44, v1
	v_lshlrev_b32_e32 v2, 4, v1
	v_add_u32_e32 v43, v26, v2
	v_and_b32_e32 v2, 1, v1
	v_add_co_u32_e32 v3, vcc, -1, v2
	v_addc_co_u32_e64 v4, s[26:27], 0, -1, vcc
	v_cmp_ne_u32_e32 vcc, 0, v2
	v_lshlrev_b32_e32 v18, 30, v1
	v_xor_b32_e32 v2, vcc_hi, v4
	v_xor_b32_e32 v3, vcc_lo, v3
	v_cmp_gt_i64_e32 vcc, 0, v[17:18]
	v_not_b32_e32 v4, v18
	v_ashrrev_i32_e32 v4, 31, v4
	v_and_b32_e32 v2, exec_hi, v2
	v_xor_b32_e32 v18, vcc_hi, v4
	v_and_b32_e32 v3, exec_lo, v3
	v_xor_b32_e32 v4, vcc_lo, v4
	v_and_b32_e32 v2, v2, v18
	v_lshlrev_b32_e32 v18, 29, v1
	v_and_b32_e32 v3, v3, v4
	v_cmp_gt_i64_e32 vcc, 0, v[17:18]
	v_not_b32_e32 v4, v18
	v_ashrrev_i32_e32 v4, 31, v4
	v_xor_b32_e32 v18, vcc_hi, v4
	v_xor_b32_e32 v4, vcc_lo, v4
	v_and_b32_e32 v2, v2, v18
	v_lshlrev_b32_e32 v18, 28, v1
	v_and_b32_e32 v3, v3, v4
	v_cmp_gt_i64_e32 vcc, 0, v[17:18]
	v_not_b32_e32 v4, v18
	v_ashrrev_i32_e32 v4, 31, v4
	v_xor_b32_e32 v18, vcc_hi, v4
	;; [unrolled: 8-line block ×5, first 2 shown]
	v_and_b32_e32 v2, v2, v18
	v_lshlrev_b32_e32 v18, 24, v1
	v_xor_b32_e32 v4, vcc_lo, v4
	v_cmp_gt_i64_e32 vcc, 0, v[17:18]
	v_not_b32_e32 v1, v18
	v_ashrrev_i32_e32 v1, 31, v1
	v_and_b32_e32 v3, v3, v4
	v_xor_b32_e32 v4, vcc_hi, v1
	v_xor_b32_e32 v1, vcc_lo, v1
	; wave barrier
	ds_read_b32 v24, v43 offset:16
	v_and_b32_e32 v1, v3, v1
	v_and_b32_e32 v2, v2, v4
	v_mbcnt_lo_u32_b32 v3, v1, 0
	v_mbcnt_hi_u32_b32 v44, v2, v3
	v_cmp_ne_u64_e32 vcc, 0, v[1:2]
	v_cmp_eq_u32_e64 s[26:27], 0, v44
	s_and_b64 s[46:47], vcc, s[26:27]
	; wave barrier
	s_and_saveexec_b64 s[26:27], s[46:47]
	s_cbranch_execz .LBB0_25
; %bb.24:                               ;   in Loop: Header=BB0_19 Depth=1
	v_bcnt_u32_b32 v1, v1, 0
	v_bcnt_u32_b32 v1, v2, v1
	s_waitcnt lgkmcnt(0)
	v_add_u32_e32 v1, v24, v1
	ds_write_b32 v43, v1 offset:16
.LBB0_25:                               ;   in Loop: Header=BB0_19 Depth=1
	s_or_b64 exec, exec, s[26:27]
	v_lshrrev_b32_e32 v42, 16, v39
	v_lshrrev_b32_e32 v1, s36, v42
	v_and_b32_e32 v1, s44, v1
	v_lshlrev_b32_e32 v2, 4, v1
	v_add_u32_e32 v46, v26, v2
	v_and_b32_e32 v2, 1, v1
	v_add_co_u32_e32 v3, vcc, -1, v2
	v_addc_co_u32_e64 v4, s[26:27], 0, -1, vcc
	v_cmp_ne_u32_e32 vcc, 0, v2
	v_lshlrev_b32_e32 v18, 30, v1
	v_xor_b32_e32 v2, vcc_hi, v4
	v_xor_b32_e32 v3, vcc_lo, v3
	v_cmp_gt_i64_e32 vcc, 0, v[17:18]
	v_not_b32_e32 v4, v18
	v_ashrrev_i32_e32 v4, 31, v4
	v_and_b32_e32 v2, exec_hi, v2
	v_xor_b32_e32 v18, vcc_hi, v4
	v_and_b32_e32 v3, exec_lo, v3
	v_xor_b32_e32 v4, vcc_lo, v4
	v_and_b32_e32 v2, v2, v18
	v_lshlrev_b32_e32 v18, 29, v1
	v_and_b32_e32 v3, v3, v4
	v_cmp_gt_i64_e32 vcc, 0, v[17:18]
	v_not_b32_e32 v4, v18
	v_ashrrev_i32_e32 v4, 31, v4
	v_xor_b32_e32 v18, vcc_hi, v4
	v_xor_b32_e32 v4, vcc_lo, v4
	v_and_b32_e32 v2, v2, v18
	v_lshlrev_b32_e32 v18, 28, v1
	v_and_b32_e32 v3, v3, v4
	v_cmp_gt_i64_e32 vcc, 0, v[17:18]
	v_not_b32_e32 v4, v18
	v_ashrrev_i32_e32 v4, 31, v4
	v_xor_b32_e32 v18, vcc_hi, v4
	;; [unrolled: 8-line block ×5, first 2 shown]
	v_and_b32_e32 v2, v2, v18
	v_lshlrev_b32_e32 v18, 24, v1
	v_xor_b32_e32 v4, vcc_lo, v4
	v_cmp_gt_i64_e32 vcc, 0, v[17:18]
	v_not_b32_e32 v1, v18
	v_ashrrev_i32_e32 v1, 31, v1
	v_and_b32_e32 v3, v3, v4
	v_xor_b32_e32 v4, vcc_hi, v1
	v_xor_b32_e32 v1, vcc_lo, v1
	; wave barrier
	ds_read_b32 v45, v46 offset:16
	v_and_b32_e32 v1, v3, v1
	v_and_b32_e32 v2, v2, v4
	v_mbcnt_lo_u32_b32 v3, v1, 0
	v_mbcnt_hi_u32_b32 v18, v2, v3
	v_cmp_ne_u64_e32 vcc, 0, v[1:2]
	v_cmp_eq_u32_e64 s[26:27], 0, v18
	s_and_b64 s[44:45], vcc, s[26:27]
	; wave barrier
	s_and_saveexec_b64 s[26:27], s[44:45]
	s_cbranch_execz .LBB0_27
; %bb.26:                               ;   in Loop: Header=BB0_19 Depth=1
	v_bcnt_u32_b32 v1, v1, 0
	v_bcnt_u32_b32 v1, v2, v1
	s_waitcnt lgkmcnt(0)
	v_add_u32_e32 v1, v45, v1
	ds_write_b32 v46, v1 offset:16
.LBB0_27:                               ;   in Loop: Header=BB0_19 Depth=1
	s_or_b64 exec, exec, s[26:27]
	; wave barrier
	s_waitcnt lgkmcnt(0)
	s_barrier
	ds_read2_b64 v[1:4], v25 offset0:2 offset1:3
	s_waitcnt lgkmcnt(0)
	v_add_u32_e32 v47, v2, v1
	v_add3_u32 v4, v47, v3, v4
	s_nop 1
	v_mov_b32_dpp v47, v4 row_shr:1 row_mask:0xf bank_mask:0xf
	v_cndmask_b32_e64 v47, v47, 0, s[0:1]
	v_add_u32_e32 v4, v47, v4
	s_nop 1
	v_mov_b32_dpp v47, v4 row_shr:2 row_mask:0xf bank_mask:0xf
	v_cndmask_b32_e64 v47, 0, v47, s[2:3]
	v_add_u32_e32 v4, v4, v47
	;; [unrolled: 4-line block ×4, first 2 shown]
	s_nop 1
	v_mov_b32_dpp v47, v4 row_bcast:15 row_mask:0xf bank_mask:0xf
	v_cndmask_b32_e64 v47, v47, 0, s[8:9]
	v_add_u32_e32 v4, v4, v47
	s_nop 1
	v_mov_b32_dpp v47, v4 row_bcast:31 row_mask:0xf bank_mask:0xf
	v_cndmask_b32_e64 v47, 0, v47, s[10:11]
	v_add_u32_e32 v4, v4, v47
	s_and_saveexec_b64 s[26:27], s[12:13]
; %bb.28:                               ;   in Loop: Header=BB0_19 Depth=1
	ds_write_b32 v28, v4
; %bb.29:                               ;   in Loop: Header=BB0_19 Depth=1
	s_or_b64 exec, exec, s[26:27]
	s_waitcnt lgkmcnt(0)
	s_barrier
	s_and_saveexec_b64 s[26:27], s[14:15]
	s_cbranch_execz .LBB0_31
; %bb.30:                               ;   in Loop: Header=BB0_19 Depth=1
	ds_read_b32 v47, v34
	s_waitcnt lgkmcnt(0)
	s_nop 0
	v_mov_b32_dpp v48, v47 row_shr:1 row_mask:0xf bank_mask:0xf
	v_cndmask_b32_e64 v48, v48, 0, s[22:23]
	v_add_u32_e32 v47, v48, v47
	s_nop 1
	v_mov_b32_dpp v48, v47 row_shr:2 row_mask:0xf bank_mask:0xf
	v_cndmask_b32_e64 v48, 0, v48, s[24:25]
	v_add_u32_e32 v47, v47, v48
	ds_write_b32 v34, v47
.LBB0_31:                               ;   in Loop: Header=BB0_19 Depth=1
	s_or_b64 exec, exec, s[26:27]
	v_mov_b32_e32 v47, 0
	s_waitcnt lgkmcnt(0)
	s_barrier
	s_and_saveexec_b64 s[26:27], s[16:17]
; %bb.32:                               ;   in Loop: Header=BB0_19 Depth=1
	ds_read_b32 v47, v29
; %bb.33:                               ;   in Loop: Header=BB0_19 Depth=1
	s_or_b64 exec, exec, s[26:27]
	s_waitcnt lgkmcnt(0)
	v_add_u32_e32 v4, v47, v4
	ds_bpermute_b32 v4, v27, v4
	s_add_i32 s36, s36, 8
	s_cmp_ge_u32 s36, s40
	s_mov_b64 s[26:27], -1
                                        ; implicit-def: $vgpr49
	s_waitcnt lgkmcnt(0)
	v_cndmask_b32_e64 v4, v4, v47, s[18:19]
	v_cndmask_b32_e64 v47, v4, 0, s[20:21]
	v_add_u32_e32 v48, v47, v1
	v_add_u32_e32 v1, v48, v2
	;; [unrolled: 1-line block ×3, first 2 shown]
	ds_write2_b64 v25, v[47:48], v[1:2] offset0:2 offset1:3
	s_waitcnt lgkmcnt(0)
	s_barrier
	ds_read_b32 v1, v20 offset:16
	ds_read_b32 v2, v22 offset:16
	;; [unrolled: 1-line block ×4, first 2 shown]
	v_mov_b32_e32 v48, v40
	s_waitcnt lgkmcnt(3)
	v_add_u32_e32 v1, v1, v19
	v_mul_lo_u32 v47, v1, 6
	s_waitcnt lgkmcnt(2)
	v_add3_u32 v46, v23, v21, v2
	s_waitcnt lgkmcnt(1)
	v_add3_u32 v44, v44, v24, v3
	;; [unrolled: 2-line block ×3, first 2 shown]
	v_lshlrev_b32_e32 v45, 1, v1
	v_lshlrev_b32_e32 v2, 1, v46
	;; [unrolled: 1-line block ×4, first 2 shown]
                                        ; implicit-def: $vgpr3_vgpr4
                                        ; implicit-def: $vgpr18_vgpr19
                                        ; implicit-def: $vgpr20_vgpr21
                                        ; implicit-def: $vgpr22_vgpr23
	s_cbranch_scc1 .LBB0_18
; %bb.34:                               ;   in Loop: Header=BB0_19 Depth=1
	v_mad_u64_u32 v[3:4], s[26:27], v46, 6, v[2:3]
	v_mad_u64_u32 v[18:19], s[26:27], v44, 6, v[24:25]
	v_add_u32_e32 v21, v45, v47
	v_mad_u64_u32 v[19:20], s[26:27], v43, 6, v[1:2]
	s_barrier
	ds_write_b16 v45, v40
	ds_write_b16 v2, v41
	;; [unrolled: 1-line block ×4, first 2 shown]
	s_waitcnt lgkmcnt(0)
	s_barrier
	ds_read_u16 v40, v30
	ds_read_u16 v49, v31
	;; [unrolled: 1-line block ×4, first 2 shown]
	s_waitcnt lgkmcnt(0)
	s_barrier
	ds_write_b64 v21, v[11:12]
	ds_write_b64 v3, v[9:10]
	;; [unrolled: 1-line block ×4, first 2 shown]
	s_waitcnt lgkmcnt(0)
	s_barrier
	ds_read_b64 v[3:4], v35
	ds_read_b64 v[18:19], v36
	;; [unrolled: 1-line block ×4, first 2 shown]
	v_perm_b32 v40, v49, v40, s41
	v_perm_b32 v49, v51, v50, s41
	s_add_i32 s37, s37, -8
	s_mov_b64 s[26:27], 0
	s_waitcnt lgkmcnt(0)
	s_barrier
	s_branch .LBB0_18
.LBB0_35:
	s_barrier
	ds_write_b16 v45, v48
	ds_write_b16 v2, v41
	ds_write_b16 v24, v39
	ds_write_b16 v1, v42
	v_mad_u64_u32 v[2:3], s[0:1], v46, 6, v[2:3]
	v_lshlrev_b32_e32 v16, 1, v0
	v_mad_u64_u32 v[3:4], s[0:1], v44, 6, v[24:25]
	s_waitcnt lgkmcnt(0)
	s_barrier
	ds_read_u16 v15, v16
	ds_read_u16 v17, v16 offset:512
	ds_read_u16 v18, v16 offset:1024
	;; [unrolled: 1-line block ×3, first 2 shown]
	v_add_u32_e32 v20, v45, v47
	v_mad_u64_u32 v[13:14], s[0:1], v43, 6, v[1:2]
	v_mad_u32_u24 v1, v0, 6, v16
	s_waitcnt lgkmcnt(0)
	s_barrier
	ds_write_b64 v20, v[11:12]
	ds_write_b64 v2, v[9:10]
	;; [unrolled: 1-line block ×4, first 2 shown]
	s_waitcnt lgkmcnt(0)
	s_barrier
	ds_read2st64_b64 v[5:8], v1 offset1:4
	ds_read2st64_b64 v[1:4], v1 offset0:8 offset1:12
	s_add_u32 s0, s38, s34
	s_addc_u32 s1, s39, s35
	v_mov_b32_e32 v10, s1
	v_add_co_u32_e32 v9, vcc, s0, v16
	v_addc_co_u32_e32 v10, vcc, 0, v10, vcc
	v_xor_b32_e32 v15, -1, v15
	v_xor_b32_e32 v14, -1, v17
	;; [unrolled: 1-line block ×4, first 2 shown]
	s_andn2_b64 vcc, exec, s[30:31]
	v_lshlrev_b32_e32 v11, 3, v0
	s_cbranch_vccnz .LBB0_37
; %bb.36:
	s_lshl_b64 s[0:1], s[28:29], 3
	s_add_u32 s0, s42, s0
	s_addc_u32 s1, s43, s1
	v_mov_b32_e32 v16, s1
	v_add_co_u32_e32 v17, vcc, s0, v11
	v_addc_co_u32_e32 v18, vcc, 0, v16, vcc
	v_add_co_u32_e32 v16, vcc, 0x1000, v17
	global_store_short v[9:10], v15, off
	global_store_short v[9:10], v14, off offset:512
	global_store_short v[9:10], v13, off offset:1024
	;; [unrolled: 1-line block ×3, first 2 shown]
	s_waitcnt lgkmcnt(1)
	global_store_dwordx2 v11, v[5:6], s[0:1]
	global_store_dwordx2 v11, v[7:8], s[0:1] offset:2048
	v_addc_co_u32_e32 v17, vcc, 0, v18, vcc
	s_mov_b64 s[6:7], -1
	s_waitcnt lgkmcnt(0)
	global_store_dwordx2 v[16:17], v[1:2], off
	s_cbranch_execz .LBB0_38
	s_branch .LBB0_51
.LBB0_37:
	s_mov_b64 s[6:7], 0
.LBB0_38:
	v_cmp_gt_u32_e32 vcc, s33, v0
	s_and_saveexec_b64 s[0:1], vcc
	s_cbranch_execz .LBB0_40
; %bb.39:
	global_store_short v[9:10], v15, off
.LBB0_40:
	s_or_b64 exec, exec, s[0:1]
	v_or_b32_e32 v15, 0x100, v0
	v_cmp_gt_u32_e64 s[0:1], s33, v15
	s_and_saveexec_b64 s[2:3], s[0:1]
	s_cbranch_execz .LBB0_42
; %bb.41:
	global_store_short v[9:10], v14, off offset:512
.LBB0_42:
	s_or_b64 exec, exec, s[2:3]
	v_or_b32_e32 v14, 0x200, v0
	v_cmp_gt_u32_e64 s[2:3], s33, v14
	s_and_saveexec_b64 s[4:5], s[2:3]
	s_cbranch_execz .LBB0_44
; %bb.43:
	global_store_short v[9:10], v13, off offset:1024
.LBB0_44:
	;; [unrolled: 8-line block ×3, first 2 shown]
	s_or_b64 exec, exec, s[4:5]
	s_lshl_b64 s[4:5], s[28:29], 3
	s_add_u32 s4, s42, s4
	s_addc_u32 s5, s43, s5
	v_mov_b32_e32 v0, s5
	v_add_co_u32_e64 v9, s[4:5], s4, v11
	v_addc_co_u32_e64 v10, s[4:5], 0, v0, s[4:5]
	s_and_saveexec_b64 s[4:5], vcc
	s_cbranch_execnz .LBB0_57
; %bb.47:
	s_or_b64 exec, exec, s[4:5]
	s_and_saveexec_b64 s[4:5], s[0:1]
	s_cbranch_execnz .LBB0_58
.LBB0_48:
	s_or_b64 exec, exec, s[4:5]
	s_and_saveexec_b64 s[0:1], s[2:3]
	s_cbranch_execz .LBB0_50
.LBB0_49:
	s_waitcnt lgkmcnt(1)
	v_add_co_u32_e32 v5, vcc, 0x1000, v9
	v_addc_co_u32_e32 v6, vcc, 0, v10, vcc
	s_waitcnt lgkmcnt(0)
	global_store_dwordx2 v[5:6], v[1:2], off
.LBB0_50:
	s_or_b64 exec, exec, s[0:1]
.LBB0_51:
	s_and_saveexec_b64 s[0:1], s[6:7]
	s_cbranch_execnz .LBB0_53
; %bb.52:
	s_endpgm
.LBB0_53:
	s_lshl_b64 s[0:1], s[28:29], 3
	s_add_u32 s0, s42, s0
	s_addc_u32 s1, s43, s1
	v_mov_b32_e32 v0, s1
	s_waitcnt lgkmcnt(0)
	v_add_co_u32_e32 v1, vcc, s0, v11
	v_addc_co_u32_e32 v2, vcc, 0, v0, vcc
	v_add_co_u32_e32 v0, vcc, 0x1000, v1
	v_addc_co_u32_e32 v1, vcc, 0, v2, vcc
	global_store_dwordx2 v[0:1], v[3:4], off offset:2048
	s_endpgm
.LBB0_54:
	global_load_dwordx2 v[3:4], v[7:8], off
	s_or_b64 exec, exec, s[8:9]
                                        ; implicit-def: $vgpr18_vgpr19
	s_and_saveexec_b64 s[8:9], s[0:1]
	s_cbranch_execz .LBB0_13
.LBB0_55:
	global_load_dwordx2 v[18:19], v[7:8], off offset:512
	s_or_b64 exec, exec, s[8:9]
                                        ; implicit-def: $vgpr20_vgpr21
	s_and_saveexec_b64 s[0:1], s[2:3]
	s_cbranch_execz .LBB0_14
.LBB0_56:
	global_load_dwordx2 v[20:21], v[7:8], off offset:1024
	s_or_b64 exec, exec, s[0:1]
                                        ; implicit-def: $vgpr22_vgpr23
	s_and_saveexec_b64 s[0:1], s[6:7]
	s_cbranch_execnz .LBB0_15
	s_branch .LBB0_16
.LBB0_57:
	s_waitcnt lgkmcnt(1)
	global_store_dwordx2 v[9:10], v[5:6], off
	s_or_b64 exec, exec, s[4:5]
	s_and_saveexec_b64 s[4:5], s[0:1]
	s_cbranch_execz .LBB0_48
.LBB0_58:
	s_waitcnt lgkmcnt(1)
	global_store_dwordx2 v[9:10], v[7:8], off offset:2048
	s_or_b64 exec, exec, s[4:5]
	s_and_saveexec_b64 s[0:1], s[2:3]
	s_cbranch_execnz .LBB0_49
	s_branch .LBB0_50
	.section	.rodata,"a",@progbits
	.p2align	6, 0x0
	.amdhsa_kernel _ZN7rocprim17ROCPRIM_304000_NS6detail28radix_sort_block_sort_kernelINS1_36wrapped_radix_sort_block_sort_configINS0_13kernel_configILj256ELj4ELj4294967295EEEtN2at4cuda3cub6detail10OpaqueTypeILi8EEEEELb1EPKtPtPKSB_PSB_NS0_19identity_decomposerEEEvT1_T2_T3_T4_jT5_jj
		.amdhsa_group_segment_fixed_size 8192
		.amdhsa_private_segment_fixed_size 0
		.amdhsa_kernarg_size 304
		.amdhsa_user_sgpr_count 6
		.amdhsa_user_sgpr_private_segment_buffer 1
		.amdhsa_user_sgpr_dispatch_ptr 0
		.amdhsa_user_sgpr_queue_ptr 0
		.amdhsa_user_sgpr_kernarg_segment_ptr 1
		.amdhsa_user_sgpr_dispatch_id 0
		.amdhsa_user_sgpr_flat_scratch_init 0
		.amdhsa_user_sgpr_private_segment_size 0
		.amdhsa_uses_dynamic_stack 0
		.amdhsa_system_sgpr_private_segment_wavefront_offset 0
		.amdhsa_system_sgpr_workgroup_id_x 1
		.amdhsa_system_sgpr_workgroup_id_y 0
		.amdhsa_system_sgpr_workgroup_id_z 0
		.amdhsa_system_sgpr_workgroup_info 0
		.amdhsa_system_vgpr_workitem_id 2
		.amdhsa_next_free_vgpr 52
		.amdhsa_next_free_sgpr 61
		.amdhsa_reserve_vcc 1
		.amdhsa_reserve_flat_scratch 0
		.amdhsa_float_round_mode_32 0
		.amdhsa_float_round_mode_16_64 0
		.amdhsa_float_denorm_mode_32 3
		.amdhsa_float_denorm_mode_16_64 3
		.amdhsa_dx10_clamp 1
		.amdhsa_ieee_mode 1
		.amdhsa_fp16_overflow 0
		.amdhsa_exception_fp_ieee_invalid_op 0
		.amdhsa_exception_fp_denorm_src 0
		.amdhsa_exception_fp_ieee_div_zero 0
		.amdhsa_exception_fp_ieee_overflow 0
		.amdhsa_exception_fp_ieee_underflow 0
		.amdhsa_exception_fp_ieee_inexact 0
		.amdhsa_exception_int_div_zero 0
	.end_amdhsa_kernel
	.section	.text._ZN7rocprim17ROCPRIM_304000_NS6detail28radix_sort_block_sort_kernelINS1_36wrapped_radix_sort_block_sort_configINS0_13kernel_configILj256ELj4ELj4294967295EEEtN2at4cuda3cub6detail10OpaqueTypeILi8EEEEELb1EPKtPtPKSB_PSB_NS0_19identity_decomposerEEEvT1_T2_T3_T4_jT5_jj,"axG",@progbits,_ZN7rocprim17ROCPRIM_304000_NS6detail28radix_sort_block_sort_kernelINS1_36wrapped_radix_sort_block_sort_configINS0_13kernel_configILj256ELj4ELj4294967295EEEtN2at4cuda3cub6detail10OpaqueTypeILi8EEEEELb1EPKtPtPKSB_PSB_NS0_19identity_decomposerEEEvT1_T2_T3_T4_jT5_jj,comdat
.Lfunc_end0:
	.size	_ZN7rocprim17ROCPRIM_304000_NS6detail28radix_sort_block_sort_kernelINS1_36wrapped_radix_sort_block_sort_configINS0_13kernel_configILj256ELj4ELj4294967295EEEtN2at4cuda3cub6detail10OpaqueTypeILi8EEEEELb1EPKtPtPKSB_PSB_NS0_19identity_decomposerEEEvT1_T2_T3_T4_jT5_jj, .Lfunc_end0-_ZN7rocprim17ROCPRIM_304000_NS6detail28radix_sort_block_sort_kernelINS1_36wrapped_radix_sort_block_sort_configINS0_13kernel_configILj256ELj4ELj4294967295EEEtN2at4cuda3cub6detail10OpaqueTypeILi8EEEEELb1EPKtPtPKSB_PSB_NS0_19identity_decomposerEEEvT1_T2_T3_T4_jT5_jj
                                        ; -- End function
	.set _ZN7rocprim17ROCPRIM_304000_NS6detail28radix_sort_block_sort_kernelINS1_36wrapped_radix_sort_block_sort_configINS0_13kernel_configILj256ELj4ELj4294967295EEEtN2at4cuda3cub6detail10OpaqueTypeILi8EEEEELb1EPKtPtPKSB_PSB_NS0_19identity_decomposerEEEvT1_T2_T3_T4_jT5_jj.num_vgpr, 52
	.set _ZN7rocprim17ROCPRIM_304000_NS6detail28radix_sort_block_sort_kernelINS1_36wrapped_radix_sort_block_sort_configINS0_13kernel_configILj256ELj4ELj4294967295EEEtN2at4cuda3cub6detail10OpaqueTypeILi8EEEEELb1EPKtPtPKSB_PSB_NS0_19identity_decomposerEEEvT1_T2_T3_T4_jT5_jj.num_agpr, 0
	.set _ZN7rocprim17ROCPRIM_304000_NS6detail28radix_sort_block_sort_kernelINS1_36wrapped_radix_sort_block_sort_configINS0_13kernel_configILj256ELj4ELj4294967295EEEtN2at4cuda3cub6detail10OpaqueTypeILi8EEEEELb1EPKtPtPKSB_PSB_NS0_19identity_decomposerEEEvT1_T2_T3_T4_jT5_jj.numbered_sgpr, 48
	.set _ZN7rocprim17ROCPRIM_304000_NS6detail28radix_sort_block_sort_kernelINS1_36wrapped_radix_sort_block_sort_configINS0_13kernel_configILj256ELj4ELj4294967295EEEtN2at4cuda3cub6detail10OpaqueTypeILi8EEEEELb1EPKtPtPKSB_PSB_NS0_19identity_decomposerEEEvT1_T2_T3_T4_jT5_jj.num_named_barrier, 0
	.set _ZN7rocprim17ROCPRIM_304000_NS6detail28radix_sort_block_sort_kernelINS1_36wrapped_radix_sort_block_sort_configINS0_13kernel_configILj256ELj4ELj4294967295EEEtN2at4cuda3cub6detail10OpaqueTypeILi8EEEEELb1EPKtPtPKSB_PSB_NS0_19identity_decomposerEEEvT1_T2_T3_T4_jT5_jj.private_seg_size, 0
	.set _ZN7rocprim17ROCPRIM_304000_NS6detail28radix_sort_block_sort_kernelINS1_36wrapped_radix_sort_block_sort_configINS0_13kernel_configILj256ELj4ELj4294967295EEEtN2at4cuda3cub6detail10OpaqueTypeILi8EEEEELb1EPKtPtPKSB_PSB_NS0_19identity_decomposerEEEvT1_T2_T3_T4_jT5_jj.uses_vcc, 1
	.set _ZN7rocprim17ROCPRIM_304000_NS6detail28radix_sort_block_sort_kernelINS1_36wrapped_radix_sort_block_sort_configINS0_13kernel_configILj256ELj4ELj4294967295EEEtN2at4cuda3cub6detail10OpaqueTypeILi8EEEEELb1EPKtPtPKSB_PSB_NS0_19identity_decomposerEEEvT1_T2_T3_T4_jT5_jj.uses_flat_scratch, 0
	.set _ZN7rocprim17ROCPRIM_304000_NS6detail28radix_sort_block_sort_kernelINS1_36wrapped_radix_sort_block_sort_configINS0_13kernel_configILj256ELj4ELj4294967295EEEtN2at4cuda3cub6detail10OpaqueTypeILi8EEEEELb1EPKtPtPKSB_PSB_NS0_19identity_decomposerEEEvT1_T2_T3_T4_jT5_jj.has_dyn_sized_stack, 0
	.set _ZN7rocprim17ROCPRIM_304000_NS6detail28radix_sort_block_sort_kernelINS1_36wrapped_radix_sort_block_sort_configINS0_13kernel_configILj256ELj4ELj4294967295EEEtN2at4cuda3cub6detail10OpaqueTypeILi8EEEEELb1EPKtPtPKSB_PSB_NS0_19identity_decomposerEEEvT1_T2_T3_T4_jT5_jj.has_recursion, 0
	.set _ZN7rocprim17ROCPRIM_304000_NS6detail28radix_sort_block_sort_kernelINS1_36wrapped_radix_sort_block_sort_configINS0_13kernel_configILj256ELj4ELj4294967295EEEtN2at4cuda3cub6detail10OpaqueTypeILi8EEEEELb1EPKtPtPKSB_PSB_NS0_19identity_decomposerEEEvT1_T2_T3_T4_jT5_jj.has_indirect_call, 0
	.section	.AMDGPU.csdata,"",@progbits
; Kernel info:
; codeLenInByte = 3988
; TotalNumSgprs: 52
; NumVgprs: 52
; ScratchSize: 0
; MemoryBound: 0
; FloatMode: 240
; IeeeMode: 1
; LDSByteSize: 8192 bytes/workgroup (compile time only)
; SGPRBlocks: 8
; VGPRBlocks: 12
; NumSGPRsForWavesPerEU: 65
; NumVGPRsForWavesPerEU: 52
; Occupancy: 4
; WaveLimiterHint : 1
; COMPUTE_PGM_RSRC2:SCRATCH_EN: 0
; COMPUTE_PGM_RSRC2:USER_SGPR: 6
; COMPUTE_PGM_RSRC2:TRAP_HANDLER: 0
; COMPUTE_PGM_RSRC2:TGID_X_EN: 1
; COMPUTE_PGM_RSRC2:TGID_Y_EN: 0
; COMPUTE_PGM_RSRC2:TGID_Z_EN: 0
; COMPUTE_PGM_RSRC2:TIDIG_COMP_CNT: 2
	.section	.text._ZN7rocprim17ROCPRIM_304000_NS6detail39device_merge_sort_compile_time_verifierINS1_36wrapped_merge_sort_block_sort_configINS1_28merge_sort_block_sort_configILj256ELj4ELNS0_20block_sort_algorithmE0EEEtN2at4cuda3cub6detail10OpaqueTypeILi8EEEEENS1_37wrapped_merge_sort_block_merge_configINS0_14default_configEtSC_EEEEvv,"axG",@progbits,_ZN7rocprim17ROCPRIM_304000_NS6detail39device_merge_sort_compile_time_verifierINS1_36wrapped_merge_sort_block_sort_configINS1_28merge_sort_block_sort_configILj256ELj4ELNS0_20block_sort_algorithmE0EEEtN2at4cuda3cub6detail10OpaqueTypeILi8EEEEENS1_37wrapped_merge_sort_block_merge_configINS0_14default_configEtSC_EEEEvv,comdat
	.protected	_ZN7rocprim17ROCPRIM_304000_NS6detail39device_merge_sort_compile_time_verifierINS1_36wrapped_merge_sort_block_sort_configINS1_28merge_sort_block_sort_configILj256ELj4ELNS0_20block_sort_algorithmE0EEEtN2at4cuda3cub6detail10OpaqueTypeILi8EEEEENS1_37wrapped_merge_sort_block_merge_configINS0_14default_configEtSC_EEEEvv ; -- Begin function _ZN7rocprim17ROCPRIM_304000_NS6detail39device_merge_sort_compile_time_verifierINS1_36wrapped_merge_sort_block_sort_configINS1_28merge_sort_block_sort_configILj256ELj4ELNS0_20block_sort_algorithmE0EEEtN2at4cuda3cub6detail10OpaqueTypeILi8EEEEENS1_37wrapped_merge_sort_block_merge_configINS0_14default_configEtSC_EEEEvv
	.globl	_ZN7rocprim17ROCPRIM_304000_NS6detail39device_merge_sort_compile_time_verifierINS1_36wrapped_merge_sort_block_sort_configINS1_28merge_sort_block_sort_configILj256ELj4ELNS0_20block_sort_algorithmE0EEEtN2at4cuda3cub6detail10OpaqueTypeILi8EEEEENS1_37wrapped_merge_sort_block_merge_configINS0_14default_configEtSC_EEEEvv
	.p2align	8
	.type	_ZN7rocprim17ROCPRIM_304000_NS6detail39device_merge_sort_compile_time_verifierINS1_36wrapped_merge_sort_block_sort_configINS1_28merge_sort_block_sort_configILj256ELj4ELNS0_20block_sort_algorithmE0EEEtN2at4cuda3cub6detail10OpaqueTypeILi8EEEEENS1_37wrapped_merge_sort_block_merge_configINS0_14default_configEtSC_EEEEvv,@function
_ZN7rocprim17ROCPRIM_304000_NS6detail39device_merge_sort_compile_time_verifierINS1_36wrapped_merge_sort_block_sort_configINS1_28merge_sort_block_sort_configILj256ELj4ELNS0_20block_sort_algorithmE0EEEtN2at4cuda3cub6detail10OpaqueTypeILi8EEEEENS1_37wrapped_merge_sort_block_merge_configINS0_14default_configEtSC_EEEEvv: ; @_ZN7rocprim17ROCPRIM_304000_NS6detail39device_merge_sort_compile_time_verifierINS1_36wrapped_merge_sort_block_sort_configINS1_28merge_sort_block_sort_configILj256ELj4ELNS0_20block_sort_algorithmE0EEEtN2at4cuda3cub6detail10OpaqueTypeILi8EEEEENS1_37wrapped_merge_sort_block_merge_configINS0_14default_configEtSC_EEEEvv
; %bb.0:
	s_endpgm
	.section	.rodata,"a",@progbits
	.p2align	6, 0x0
	.amdhsa_kernel _ZN7rocprim17ROCPRIM_304000_NS6detail39device_merge_sort_compile_time_verifierINS1_36wrapped_merge_sort_block_sort_configINS1_28merge_sort_block_sort_configILj256ELj4ELNS0_20block_sort_algorithmE0EEEtN2at4cuda3cub6detail10OpaqueTypeILi8EEEEENS1_37wrapped_merge_sort_block_merge_configINS0_14default_configEtSC_EEEEvv
		.amdhsa_group_segment_fixed_size 0
		.amdhsa_private_segment_fixed_size 0
		.amdhsa_kernarg_size 0
		.amdhsa_user_sgpr_count 4
		.amdhsa_user_sgpr_private_segment_buffer 1
		.amdhsa_user_sgpr_dispatch_ptr 0
		.amdhsa_user_sgpr_queue_ptr 0
		.amdhsa_user_sgpr_kernarg_segment_ptr 0
		.amdhsa_user_sgpr_dispatch_id 0
		.amdhsa_user_sgpr_flat_scratch_init 0
		.amdhsa_user_sgpr_private_segment_size 0
		.amdhsa_uses_dynamic_stack 0
		.amdhsa_system_sgpr_private_segment_wavefront_offset 0
		.amdhsa_system_sgpr_workgroup_id_x 1
		.amdhsa_system_sgpr_workgroup_id_y 0
		.amdhsa_system_sgpr_workgroup_id_z 0
		.amdhsa_system_sgpr_workgroup_info 0
		.amdhsa_system_vgpr_workitem_id 0
		.amdhsa_next_free_vgpr 1
		.amdhsa_next_free_sgpr 0
		.amdhsa_reserve_vcc 0
		.amdhsa_reserve_flat_scratch 0
		.amdhsa_float_round_mode_32 0
		.amdhsa_float_round_mode_16_64 0
		.amdhsa_float_denorm_mode_32 3
		.amdhsa_float_denorm_mode_16_64 3
		.amdhsa_dx10_clamp 1
		.amdhsa_ieee_mode 1
		.amdhsa_fp16_overflow 0
		.amdhsa_exception_fp_ieee_invalid_op 0
		.amdhsa_exception_fp_denorm_src 0
		.amdhsa_exception_fp_ieee_div_zero 0
		.amdhsa_exception_fp_ieee_overflow 0
		.amdhsa_exception_fp_ieee_underflow 0
		.amdhsa_exception_fp_ieee_inexact 0
		.amdhsa_exception_int_div_zero 0
	.end_amdhsa_kernel
	.section	.text._ZN7rocprim17ROCPRIM_304000_NS6detail39device_merge_sort_compile_time_verifierINS1_36wrapped_merge_sort_block_sort_configINS1_28merge_sort_block_sort_configILj256ELj4ELNS0_20block_sort_algorithmE0EEEtN2at4cuda3cub6detail10OpaqueTypeILi8EEEEENS1_37wrapped_merge_sort_block_merge_configINS0_14default_configEtSC_EEEEvv,"axG",@progbits,_ZN7rocprim17ROCPRIM_304000_NS6detail39device_merge_sort_compile_time_verifierINS1_36wrapped_merge_sort_block_sort_configINS1_28merge_sort_block_sort_configILj256ELj4ELNS0_20block_sort_algorithmE0EEEtN2at4cuda3cub6detail10OpaqueTypeILi8EEEEENS1_37wrapped_merge_sort_block_merge_configINS0_14default_configEtSC_EEEEvv,comdat
.Lfunc_end1:
	.size	_ZN7rocprim17ROCPRIM_304000_NS6detail39device_merge_sort_compile_time_verifierINS1_36wrapped_merge_sort_block_sort_configINS1_28merge_sort_block_sort_configILj256ELj4ELNS0_20block_sort_algorithmE0EEEtN2at4cuda3cub6detail10OpaqueTypeILi8EEEEENS1_37wrapped_merge_sort_block_merge_configINS0_14default_configEtSC_EEEEvv, .Lfunc_end1-_ZN7rocprim17ROCPRIM_304000_NS6detail39device_merge_sort_compile_time_verifierINS1_36wrapped_merge_sort_block_sort_configINS1_28merge_sort_block_sort_configILj256ELj4ELNS0_20block_sort_algorithmE0EEEtN2at4cuda3cub6detail10OpaqueTypeILi8EEEEENS1_37wrapped_merge_sort_block_merge_configINS0_14default_configEtSC_EEEEvv
                                        ; -- End function
	.set _ZN7rocprim17ROCPRIM_304000_NS6detail39device_merge_sort_compile_time_verifierINS1_36wrapped_merge_sort_block_sort_configINS1_28merge_sort_block_sort_configILj256ELj4ELNS0_20block_sort_algorithmE0EEEtN2at4cuda3cub6detail10OpaqueTypeILi8EEEEENS1_37wrapped_merge_sort_block_merge_configINS0_14default_configEtSC_EEEEvv.num_vgpr, 0
	.set _ZN7rocprim17ROCPRIM_304000_NS6detail39device_merge_sort_compile_time_verifierINS1_36wrapped_merge_sort_block_sort_configINS1_28merge_sort_block_sort_configILj256ELj4ELNS0_20block_sort_algorithmE0EEEtN2at4cuda3cub6detail10OpaqueTypeILi8EEEEENS1_37wrapped_merge_sort_block_merge_configINS0_14default_configEtSC_EEEEvv.num_agpr, 0
	.set _ZN7rocprim17ROCPRIM_304000_NS6detail39device_merge_sort_compile_time_verifierINS1_36wrapped_merge_sort_block_sort_configINS1_28merge_sort_block_sort_configILj256ELj4ELNS0_20block_sort_algorithmE0EEEtN2at4cuda3cub6detail10OpaqueTypeILi8EEEEENS1_37wrapped_merge_sort_block_merge_configINS0_14default_configEtSC_EEEEvv.numbered_sgpr, 0
	.set _ZN7rocprim17ROCPRIM_304000_NS6detail39device_merge_sort_compile_time_verifierINS1_36wrapped_merge_sort_block_sort_configINS1_28merge_sort_block_sort_configILj256ELj4ELNS0_20block_sort_algorithmE0EEEtN2at4cuda3cub6detail10OpaqueTypeILi8EEEEENS1_37wrapped_merge_sort_block_merge_configINS0_14default_configEtSC_EEEEvv.num_named_barrier, 0
	.set _ZN7rocprim17ROCPRIM_304000_NS6detail39device_merge_sort_compile_time_verifierINS1_36wrapped_merge_sort_block_sort_configINS1_28merge_sort_block_sort_configILj256ELj4ELNS0_20block_sort_algorithmE0EEEtN2at4cuda3cub6detail10OpaqueTypeILi8EEEEENS1_37wrapped_merge_sort_block_merge_configINS0_14default_configEtSC_EEEEvv.private_seg_size, 0
	.set _ZN7rocprim17ROCPRIM_304000_NS6detail39device_merge_sort_compile_time_verifierINS1_36wrapped_merge_sort_block_sort_configINS1_28merge_sort_block_sort_configILj256ELj4ELNS0_20block_sort_algorithmE0EEEtN2at4cuda3cub6detail10OpaqueTypeILi8EEEEENS1_37wrapped_merge_sort_block_merge_configINS0_14default_configEtSC_EEEEvv.uses_vcc, 0
	.set _ZN7rocprim17ROCPRIM_304000_NS6detail39device_merge_sort_compile_time_verifierINS1_36wrapped_merge_sort_block_sort_configINS1_28merge_sort_block_sort_configILj256ELj4ELNS0_20block_sort_algorithmE0EEEtN2at4cuda3cub6detail10OpaqueTypeILi8EEEEENS1_37wrapped_merge_sort_block_merge_configINS0_14default_configEtSC_EEEEvv.uses_flat_scratch, 0
	.set _ZN7rocprim17ROCPRIM_304000_NS6detail39device_merge_sort_compile_time_verifierINS1_36wrapped_merge_sort_block_sort_configINS1_28merge_sort_block_sort_configILj256ELj4ELNS0_20block_sort_algorithmE0EEEtN2at4cuda3cub6detail10OpaqueTypeILi8EEEEENS1_37wrapped_merge_sort_block_merge_configINS0_14default_configEtSC_EEEEvv.has_dyn_sized_stack, 0
	.set _ZN7rocprim17ROCPRIM_304000_NS6detail39device_merge_sort_compile_time_verifierINS1_36wrapped_merge_sort_block_sort_configINS1_28merge_sort_block_sort_configILj256ELj4ELNS0_20block_sort_algorithmE0EEEtN2at4cuda3cub6detail10OpaqueTypeILi8EEEEENS1_37wrapped_merge_sort_block_merge_configINS0_14default_configEtSC_EEEEvv.has_recursion, 0
	.set _ZN7rocprim17ROCPRIM_304000_NS6detail39device_merge_sort_compile_time_verifierINS1_36wrapped_merge_sort_block_sort_configINS1_28merge_sort_block_sort_configILj256ELj4ELNS0_20block_sort_algorithmE0EEEtN2at4cuda3cub6detail10OpaqueTypeILi8EEEEENS1_37wrapped_merge_sort_block_merge_configINS0_14default_configEtSC_EEEEvv.has_indirect_call, 0
	.section	.AMDGPU.csdata,"",@progbits
; Kernel info:
; codeLenInByte = 4
; TotalNumSgprs: 4
; NumVgprs: 0
; ScratchSize: 0
; MemoryBound: 0
; FloatMode: 240
; IeeeMode: 1
; LDSByteSize: 0 bytes/workgroup (compile time only)
; SGPRBlocks: 0
; VGPRBlocks: 0
; NumSGPRsForWavesPerEU: 4
; NumVGPRsForWavesPerEU: 1
; Occupancy: 10
; WaveLimiterHint : 0
; COMPUTE_PGM_RSRC2:SCRATCH_EN: 0
; COMPUTE_PGM_RSRC2:USER_SGPR: 4
; COMPUTE_PGM_RSRC2:TRAP_HANDLER: 0
; COMPUTE_PGM_RSRC2:TGID_X_EN: 1
; COMPUTE_PGM_RSRC2:TGID_Y_EN: 0
; COMPUTE_PGM_RSRC2:TGID_Z_EN: 0
; COMPUTE_PGM_RSRC2:TIDIG_COMP_CNT: 0
	.section	.text._ZN7rocprim17ROCPRIM_304000_NS6detail45device_block_merge_mergepath_partition_kernelINS1_37wrapped_merge_sort_block_merge_configINS0_14default_configEtN2at4cuda3cub6detail10OpaqueTypeILi8EEEEEPtjNS1_19radix_merge_compareILb1ELb0EtNS0_19identity_decomposerEEEEEvT0_T1_jPSH_T2_SH_,"axG",@progbits,_ZN7rocprim17ROCPRIM_304000_NS6detail45device_block_merge_mergepath_partition_kernelINS1_37wrapped_merge_sort_block_merge_configINS0_14default_configEtN2at4cuda3cub6detail10OpaqueTypeILi8EEEEEPtjNS1_19radix_merge_compareILb1ELb0EtNS0_19identity_decomposerEEEEEvT0_T1_jPSH_T2_SH_,comdat
	.protected	_ZN7rocprim17ROCPRIM_304000_NS6detail45device_block_merge_mergepath_partition_kernelINS1_37wrapped_merge_sort_block_merge_configINS0_14default_configEtN2at4cuda3cub6detail10OpaqueTypeILi8EEEEEPtjNS1_19radix_merge_compareILb1ELb0EtNS0_19identity_decomposerEEEEEvT0_T1_jPSH_T2_SH_ ; -- Begin function _ZN7rocprim17ROCPRIM_304000_NS6detail45device_block_merge_mergepath_partition_kernelINS1_37wrapped_merge_sort_block_merge_configINS0_14default_configEtN2at4cuda3cub6detail10OpaqueTypeILi8EEEEEPtjNS1_19radix_merge_compareILb1ELb0EtNS0_19identity_decomposerEEEEEvT0_T1_jPSH_T2_SH_
	.globl	_ZN7rocprim17ROCPRIM_304000_NS6detail45device_block_merge_mergepath_partition_kernelINS1_37wrapped_merge_sort_block_merge_configINS0_14default_configEtN2at4cuda3cub6detail10OpaqueTypeILi8EEEEEPtjNS1_19radix_merge_compareILb1ELb0EtNS0_19identity_decomposerEEEEEvT0_T1_jPSH_T2_SH_
	.p2align	8
	.type	_ZN7rocprim17ROCPRIM_304000_NS6detail45device_block_merge_mergepath_partition_kernelINS1_37wrapped_merge_sort_block_merge_configINS0_14default_configEtN2at4cuda3cub6detail10OpaqueTypeILi8EEEEEPtjNS1_19radix_merge_compareILb1ELb0EtNS0_19identity_decomposerEEEEEvT0_T1_jPSH_T2_SH_,@function
_ZN7rocprim17ROCPRIM_304000_NS6detail45device_block_merge_mergepath_partition_kernelINS1_37wrapped_merge_sort_block_merge_configINS0_14default_configEtN2at4cuda3cub6detail10OpaqueTypeILi8EEEEEPtjNS1_19radix_merge_compareILb1ELb0EtNS0_19identity_decomposerEEEEEvT0_T1_jPSH_T2_SH_: ; @_ZN7rocprim17ROCPRIM_304000_NS6detail45device_block_merge_mergepath_partition_kernelINS1_37wrapped_merge_sort_block_merge_configINS0_14default_configEtN2at4cuda3cub6detail10OpaqueTypeILi8EEEEEPtjNS1_19radix_merge_compareILb1ELb0EtNS0_19identity_decomposerEEEEEvT0_T1_jPSH_T2_SH_
; %bb.0:
	s_load_dwordx2 s[0:1], s[4:5], 0x8
	v_lshl_or_b32 v0, s6, 7, v0
	s_waitcnt lgkmcnt(0)
	v_cmp_gt_u32_e32 vcc, s1, v0
	s_and_saveexec_b64 s[2:3], vcc
	s_cbranch_execz .LBB2_6
; %bb.1:
	s_load_dword s1, s[4:5], 0x1c
	s_waitcnt lgkmcnt(0)
	s_lshr_b32 s2, s1, 9
	s_and_b32 s2, s2, 0x7ffffe
	s_add_i32 s3, s2, -1
	s_sub_i32 s2, 0, s2
	v_and_b32_e32 v1, s2, v0
	v_lshlrev_b32_e32 v3, 10, v1
	v_min_u32_e32 v1, s0, v3
	v_add_u32_e32 v3, s1, v3
	v_min_u32_e32 v3, s0, v3
	v_add_u32_e32 v4, s1, v3
	v_and_b32_e32 v2, s3, v0
	v_min_u32_e32 v4, s0, v4
	v_lshlrev_b32_e32 v2, 10, v2
	v_sub_u32_e32 v5, v4, v1
	v_min_u32_e32 v6, v5, v2
	v_sub_u32_e32 v2, v3, v1
	v_sub_u32_e32 v4, v4, v3
	v_sub_u32_e64 v5, v6, v4 clamp
	v_min_u32_e32 v7, v6, v2
	v_cmp_lt_u32_e32 vcc, v5, v7
	s_and_saveexec_b64 s[0:1], vcc
	s_cbranch_execz .LBB2_5
; %bb.2:
	s_load_dwordx2 s[2:3], s[4:5], 0x0
	v_mov_b32_e32 v4, 0
	v_mov_b32_e32 v2, v4
	v_lshlrev_b64 v[8:9], 1, v[1:2]
	s_waitcnt lgkmcnt(0)
	v_mov_b32_e32 v11, s3
	v_add_co_u32_e32 v2, vcc, s2, v8
	v_addc_co_u32_e32 v8, vcc, v11, v9, vcc
	v_lshlrev_b64 v[9:10], 1, v[3:4]
	v_add_co_u32_e32 v9, vcc, s2, v9
	v_addc_co_u32_e32 v10, vcc, v11, v10, vcc
	s_mov_b64 s[2:3], 0
.LBB2_3:                                ; =>This Inner Loop Header: Depth=1
	v_add_u32_e32 v3, v7, v5
	v_and_b32_e32 v11, -2, v3
	v_lshrrev_b32_e32 v13, 1, v3
	v_add_co_u32_e32 v11, vcc, v2, v11
	v_xad_u32 v3, v13, -1, v6
	v_addc_co_u32_e32 v12, vcc, 0, v8, vcc
	global_load_ushort v14, v[11:12], off
	v_lshlrev_b64 v[11:12], 1, v[3:4]
	v_add_co_u32_e32 v11, vcc, v9, v11
	v_addc_co_u32_e32 v12, vcc, v10, v12, vcc
	global_load_ushort v3, v[11:12], off
	v_add_u32_e32 v11, 1, v13
	s_waitcnt vmcnt(0)
	v_cmp_gt_u16_e32 vcc, v3, v14
	v_cndmask_b32_e32 v7, v7, v13, vcc
	v_cndmask_b32_e32 v5, v11, v5, vcc
	v_cmp_ge_u32_e32 vcc, v5, v7
	s_or_b64 s[2:3], vcc, s[2:3]
	s_andn2_b64 exec, exec, s[2:3]
	s_cbranch_execnz .LBB2_3
; %bb.4:
	s_or_b64 exec, exec, s[2:3]
.LBB2_5:
	s_or_b64 exec, exec, s[0:1]
	s_load_dwordx2 s[0:1], s[4:5], 0x10
	v_add_u32_e32 v2, v5, v1
	v_mov_b32_e32 v1, 0
	v_lshlrev_b64 v[0:1], 2, v[0:1]
	s_waitcnt lgkmcnt(0)
	v_mov_b32_e32 v3, s1
	v_add_co_u32_e32 v0, vcc, s0, v0
	v_addc_co_u32_e32 v1, vcc, v3, v1, vcc
	global_store_dword v[0:1], v2, off
.LBB2_6:
	s_endpgm
	.section	.rodata,"a",@progbits
	.p2align	6, 0x0
	.amdhsa_kernel _ZN7rocprim17ROCPRIM_304000_NS6detail45device_block_merge_mergepath_partition_kernelINS1_37wrapped_merge_sort_block_merge_configINS0_14default_configEtN2at4cuda3cub6detail10OpaqueTypeILi8EEEEEPtjNS1_19radix_merge_compareILb1ELb0EtNS0_19identity_decomposerEEEEEvT0_T1_jPSH_T2_SH_
		.amdhsa_group_segment_fixed_size 0
		.amdhsa_private_segment_fixed_size 0
		.amdhsa_kernarg_size 32
		.amdhsa_user_sgpr_count 6
		.amdhsa_user_sgpr_private_segment_buffer 1
		.amdhsa_user_sgpr_dispatch_ptr 0
		.amdhsa_user_sgpr_queue_ptr 0
		.amdhsa_user_sgpr_kernarg_segment_ptr 1
		.amdhsa_user_sgpr_dispatch_id 0
		.amdhsa_user_sgpr_flat_scratch_init 0
		.amdhsa_user_sgpr_private_segment_size 0
		.amdhsa_uses_dynamic_stack 0
		.amdhsa_system_sgpr_private_segment_wavefront_offset 0
		.amdhsa_system_sgpr_workgroup_id_x 1
		.amdhsa_system_sgpr_workgroup_id_y 0
		.amdhsa_system_sgpr_workgroup_id_z 0
		.amdhsa_system_sgpr_workgroup_info 0
		.amdhsa_system_vgpr_workitem_id 0
		.amdhsa_next_free_vgpr 15
		.amdhsa_next_free_sgpr 7
		.amdhsa_reserve_vcc 1
		.amdhsa_reserve_flat_scratch 0
		.amdhsa_float_round_mode_32 0
		.amdhsa_float_round_mode_16_64 0
		.amdhsa_float_denorm_mode_32 3
		.amdhsa_float_denorm_mode_16_64 3
		.amdhsa_dx10_clamp 1
		.amdhsa_ieee_mode 1
		.amdhsa_fp16_overflow 0
		.amdhsa_exception_fp_ieee_invalid_op 0
		.amdhsa_exception_fp_denorm_src 0
		.amdhsa_exception_fp_ieee_div_zero 0
		.amdhsa_exception_fp_ieee_overflow 0
		.amdhsa_exception_fp_ieee_underflow 0
		.amdhsa_exception_fp_ieee_inexact 0
		.amdhsa_exception_int_div_zero 0
	.end_amdhsa_kernel
	.section	.text._ZN7rocprim17ROCPRIM_304000_NS6detail45device_block_merge_mergepath_partition_kernelINS1_37wrapped_merge_sort_block_merge_configINS0_14default_configEtN2at4cuda3cub6detail10OpaqueTypeILi8EEEEEPtjNS1_19radix_merge_compareILb1ELb0EtNS0_19identity_decomposerEEEEEvT0_T1_jPSH_T2_SH_,"axG",@progbits,_ZN7rocprim17ROCPRIM_304000_NS6detail45device_block_merge_mergepath_partition_kernelINS1_37wrapped_merge_sort_block_merge_configINS0_14default_configEtN2at4cuda3cub6detail10OpaqueTypeILi8EEEEEPtjNS1_19radix_merge_compareILb1ELb0EtNS0_19identity_decomposerEEEEEvT0_T1_jPSH_T2_SH_,comdat
.Lfunc_end2:
	.size	_ZN7rocprim17ROCPRIM_304000_NS6detail45device_block_merge_mergepath_partition_kernelINS1_37wrapped_merge_sort_block_merge_configINS0_14default_configEtN2at4cuda3cub6detail10OpaqueTypeILi8EEEEEPtjNS1_19radix_merge_compareILb1ELb0EtNS0_19identity_decomposerEEEEEvT0_T1_jPSH_T2_SH_, .Lfunc_end2-_ZN7rocprim17ROCPRIM_304000_NS6detail45device_block_merge_mergepath_partition_kernelINS1_37wrapped_merge_sort_block_merge_configINS0_14default_configEtN2at4cuda3cub6detail10OpaqueTypeILi8EEEEEPtjNS1_19radix_merge_compareILb1ELb0EtNS0_19identity_decomposerEEEEEvT0_T1_jPSH_T2_SH_
                                        ; -- End function
	.set _ZN7rocprim17ROCPRIM_304000_NS6detail45device_block_merge_mergepath_partition_kernelINS1_37wrapped_merge_sort_block_merge_configINS0_14default_configEtN2at4cuda3cub6detail10OpaqueTypeILi8EEEEEPtjNS1_19radix_merge_compareILb1ELb0EtNS0_19identity_decomposerEEEEEvT0_T1_jPSH_T2_SH_.num_vgpr, 15
	.set _ZN7rocprim17ROCPRIM_304000_NS6detail45device_block_merge_mergepath_partition_kernelINS1_37wrapped_merge_sort_block_merge_configINS0_14default_configEtN2at4cuda3cub6detail10OpaqueTypeILi8EEEEEPtjNS1_19radix_merge_compareILb1ELb0EtNS0_19identity_decomposerEEEEEvT0_T1_jPSH_T2_SH_.num_agpr, 0
	.set _ZN7rocprim17ROCPRIM_304000_NS6detail45device_block_merge_mergepath_partition_kernelINS1_37wrapped_merge_sort_block_merge_configINS0_14default_configEtN2at4cuda3cub6detail10OpaqueTypeILi8EEEEEPtjNS1_19radix_merge_compareILb1ELb0EtNS0_19identity_decomposerEEEEEvT0_T1_jPSH_T2_SH_.numbered_sgpr, 7
	.set _ZN7rocprim17ROCPRIM_304000_NS6detail45device_block_merge_mergepath_partition_kernelINS1_37wrapped_merge_sort_block_merge_configINS0_14default_configEtN2at4cuda3cub6detail10OpaqueTypeILi8EEEEEPtjNS1_19radix_merge_compareILb1ELb0EtNS0_19identity_decomposerEEEEEvT0_T1_jPSH_T2_SH_.num_named_barrier, 0
	.set _ZN7rocprim17ROCPRIM_304000_NS6detail45device_block_merge_mergepath_partition_kernelINS1_37wrapped_merge_sort_block_merge_configINS0_14default_configEtN2at4cuda3cub6detail10OpaqueTypeILi8EEEEEPtjNS1_19radix_merge_compareILb1ELb0EtNS0_19identity_decomposerEEEEEvT0_T1_jPSH_T2_SH_.private_seg_size, 0
	.set _ZN7rocprim17ROCPRIM_304000_NS6detail45device_block_merge_mergepath_partition_kernelINS1_37wrapped_merge_sort_block_merge_configINS0_14default_configEtN2at4cuda3cub6detail10OpaqueTypeILi8EEEEEPtjNS1_19radix_merge_compareILb1ELb0EtNS0_19identity_decomposerEEEEEvT0_T1_jPSH_T2_SH_.uses_vcc, 1
	.set _ZN7rocprim17ROCPRIM_304000_NS6detail45device_block_merge_mergepath_partition_kernelINS1_37wrapped_merge_sort_block_merge_configINS0_14default_configEtN2at4cuda3cub6detail10OpaqueTypeILi8EEEEEPtjNS1_19radix_merge_compareILb1ELb0EtNS0_19identity_decomposerEEEEEvT0_T1_jPSH_T2_SH_.uses_flat_scratch, 0
	.set _ZN7rocprim17ROCPRIM_304000_NS6detail45device_block_merge_mergepath_partition_kernelINS1_37wrapped_merge_sort_block_merge_configINS0_14default_configEtN2at4cuda3cub6detail10OpaqueTypeILi8EEEEEPtjNS1_19radix_merge_compareILb1ELb0EtNS0_19identity_decomposerEEEEEvT0_T1_jPSH_T2_SH_.has_dyn_sized_stack, 0
	.set _ZN7rocprim17ROCPRIM_304000_NS6detail45device_block_merge_mergepath_partition_kernelINS1_37wrapped_merge_sort_block_merge_configINS0_14default_configEtN2at4cuda3cub6detail10OpaqueTypeILi8EEEEEPtjNS1_19radix_merge_compareILb1ELb0EtNS0_19identity_decomposerEEEEEvT0_T1_jPSH_T2_SH_.has_recursion, 0
	.set _ZN7rocprim17ROCPRIM_304000_NS6detail45device_block_merge_mergepath_partition_kernelINS1_37wrapped_merge_sort_block_merge_configINS0_14default_configEtN2at4cuda3cub6detail10OpaqueTypeILi8EEEEEPtjNS1_19radix_merge_compareILb1ELb0EtNS0_19identity_decomposerEEEEEvT0_T1_jPSH_T2_SH_.has_indirect_call, 0
	.section	.AMDGPU.csdata,"",@progbits
; Kernel info:
; codeLenInByte = 356
; TotalNumSgprs: 11
; NumVgprs: 15
; ScratchSize: 0
; MemoryBound: 0
; FloatMode: 240
; IeeeMode: 1
; LDSByteSize: 0 bytes/workgroup (compile time only)
; SGPRBlocks: 1
; VGPRBlocks: 3
; NumSGPRsForWavesPerEU: 11
; NumVGPRsForWavesPerEU: 15
; Occupancy: 10
; WaveLimiterHint : 0
; COMPUTE_PGM_RSRC2:SCRATCH_EN: 0
; COMPUTE_PGM_RSRC2:USER_SGPR: 6
; COMPUTE_PGM_RSRC2:TRAP_HANDLER: 0
; COMPUTE_PGM_RSRC2:TGID_X_EN: 1
; COMPUTE_PGM_RSRC2:TGID_Y_EN: 0
; COMPUTE_PGM_RSRC2:TGID_Z_EN: 0
; COMPUTE_PGM_RSRC2:TIDIG_COMP_CNT: 0
	.section	.text._ZN7rocprim17ROCPRIM_304000_NS6detail35device_block_merge_mergepath_kernelINS1_37wrapped_merge_sort_block_merge_configINS0_14default_configEtN2at4cuda3cub6detail10OpaqueTypeILi8EEEEEPtSC_PSA_SD_jNS1_19radix_merge_compareILb1ELb0EtNS0_19identity_decomposerEEEEEvT0_T1_T2_T3_T4_SL_jT5_PKSL_NS1_7vsmem_tE,"axG",@progbits,_ZN7rocprim17ROCPRIM_304000_NS6detail35device_block_merge_mergepath_kernelINS1_37wrapped_merge_sort_block_merge_configINS0_14default_configEtN2at4cuda3cub6detail10OpaqueTypeILi8EEEEEPtSC_PSA_SD_jNS1_19radix_merge_compareILb1ELb0EtNS0_19identity_decomposerEEEEEvT0_T1_T2_T3_T4_SL_jT5_PKSL_NS1_7vsmem_tE,comdat
	.protected	_ZN7rocprim17ROCPRIM_304000_NS6detail35device_block_merge_mergepath_kernelINS1_37wrapped_merge_sort_block_merge_configINS0_14default_configEtN2at4cuda3cub6detail10OpaqueTypeILi8EEEEEPtSC_PSA_SD_jNS1_19radix_merge_compareILb1ELb0EtNS0_19identity_decomposerEEEEEvT0_T1_T2_T3_T4_SL_jT5_PKSL_NS1_7vsmem_tE ; -- Begin function _ZN7rocprim17ROCPRIM_304000_NS6detail35device_block_merge_mergepath_kernelINS1_37wrapped_merge_sort_block_merge_configINS0_14default_configEtN2at4cuda3cub6detail10OpaqueTypeILi8EEEEEPtSC_PSA_SD_jNS1_19radix_merge_compareILb1ELb0EtNS0_19identity_decomposerEEEEEvT0_T1_T2_T3_T4_SL_jT5_PKSL_NS1_7vsmem_tE
	.globl	_ZN7rocprim17ROCPRIM_304000_NS6detail35device_block_merge_mergepath_kernelINS1_37wrapped_merge_sort_block_merge_configINS0_14default_configEtN2at4cuda3cub6detail10OpaqueTypeILi8EEEEEPtSC_PSA_SD_jNS1_19radix_merge_compareILb1ELb0EtNS0_19identity_decomposerEEEEEvT0_T1_T2_T3_T4_SL_jT5_PKSL_NS1_7vsmem_tE
	.p2align	8
	.type	_ZN7rocprim17ROCPRIM_304000_NS6detail35device_block_merge_mergepath_kernelINS1_37wrapped_merge_sort_block_merge_configINS0_14default_configEtN2at4cuda3cub6detail10OpaqueTypeILi8EEEEEPtSC_PSA_SD_jNS1_19radix_merge_compareILb1ELb0EtNS0_19identity_decomposerEEEEEvT0_T1_T2_T3_T4_SL_jT5_PKSL_NS1_7vsmem_tE,@function
_ZN7rocprim17ROCPRIM_304000_NS6detail35device_block_merge_mergepath_kernelINS1_37wrapped_merge_sort_block_merge_configINS0_14default_configEtN2at4cuda3cub6detail10OpaqueTypeILi8EEEEEPtSC_PSA_SD_jNS1_19radix_merge_compareILb1ELb0EtNS0_19identity_decomposerEEEEEvT0_T1_T2_T3_T4_SL_jT5_PKSL_NS1_7vsmem_tE: ; @_ZN7rocprim17ROCPRIM_304000_NS6detail35device_block_merge_mergepath_kernelINS1_37wrapped_merge_sort_block_merge_configINS0_14default_configEtN2at4cuda3cub6detail10OpaqueTypeILi8EEEEEPtSC_PSA_SD_jNS1_19radix_merge_compareILb1ELb0EtNS0_19identity_decomposerEEEEEvT0_T1_T2_T3_T4_SL_jT5_PKSL_NS1_7vsmem_tE
; %bb.0:
	s_load_dwordx2 s[10:11], s[4:5], 0x40
	s_load_dwordx4 s[20:23], s[4:5], 0x20
	s_add_u32 s2, s4, 64
	s_addc_u32 s3, s5, 0
	s_waitcnt lgkmcnt(0)
	s_mul_i32 s0, s11, s8
	s_add_i32 s0, s0, s7
	s_mul_i32 s0, s0, s10
	s_add_i32 s0, s0, s6
	s_cmp_ge_u32 s0, s22
	s_cbranch_scc1 .LBB3_105
; %bb.1:
	s_load_dwordx8 s[12:19], s[4:5], 0x0
	s_load_dwordx2 s[8:9], s[4:5], 0x30
	s_lshr_b32 s11, s20, 10
	s_cmp_lg_u32 s0, s11
	s_mov_b32 s1, 0
	s_cselect_b64 s[24:25], -1, 0
	s_lshl_b64 s[4:5], s[0:1], 2
	s_waitcnt lgkmcnt(0)
	s_add_u32 s4, s8, s4
	s_addc_u32 s5, s9, s5
	s_load_dwordx2 s[26:27], s[4:5], 0x0
	s_lshr_b32 s4, s21, 9
	s_and_b32 s4, s4, 0x7ffffe
	s_sub_i32 s4, 0, s4
	s_and_b32 s5, s0, s4
	s_lshl_b32 s7, s5, 10
	s_lshl_b32 s22, s0, 10
	;; [unrolled: 1-line block ×3, first 2 shown]
	s_sub_i32 s8, s22, s7
	s_add_i32 s5, s5, s21
	s_add_i32 s8, s5, s8
	s_waitcnt lgkmcnt(0)
	s_sub_i32 s9, s8, s26
	s_sub_i32 s8, s8, s27
	;; [unrolled: 1-line block ×3, first 2 shown]
	s_min_u32 s28, s20, s9
	s_addk_i32 s8, 0x400
	s_or_b32 s4, s0, s4
	s_min_u32 s7, s20, s5
	s_add_i32 s5, s5, s21
	s_cmp_eq_u32 s4, -1
	s_cselect_b32 s4, s5, s8
	s_cselect_b32 s5, s7, s27
	s_min_u32 s4, s4, s20
	s_mov_b32 s27, s1
	s_sub_i32 s23, s5, s26
	s_sub_i32 s33, s4, s28
	s_lshl_b64 s[8:9], s[26:27], 1
	s_add_u32 s5, s12, s8
	s_mov_b32 s29, s1
	s_addc_u32 s7, s13, s9
	s_lshl_b64 s[8:9], s[28:29], 1
	s_add_u32 s4, s12, s8
	v_mov_b32_e32 v6, 0
	global_load_dword v1, v6, s[2:3] offset:14
	s_addc_u32 s8, s13, s9
	s_cmp_lt_u32 s6, s10
	s_cselect_b32 s1, 12, 18
	s_add_u32 s2, s2, s1
	s_addc_u32 s3, s3, 0
	global_load_ushort v2, v6, s[2:3]
	s_cmp_eq_u32 s0, s11
	v_cmp_gt_u32_e32 vcc, s23, v0
	v_lshlrev_b32_e32 v9, 1, v0
	s_waitcnt vmcnt(1)
	v_lshrrev_b32_e32 v3, 16, v1
	v_and_b32_e32 v1, 0xffff, v1
	v_mul_lo_u32 v1, v1, v3
	s_waitcnt vmcnt(0)
	v_mul_lo_u32 v7, v1, v2
	v_add_u32_e32 v5, v7, v0
	s_cbranch_scc1 .LBB3_3
; %bb.2:
	v_mov_b32_e32 v1, s7
	v_add_co_u32_e64 v3, s[0:1], s5, v9
	v_subrev_u32_e32 v2, s23, v0
	v_addc_co_u32_e64 v1, s[0:1], 0, v1, s[0:1]
	v_lshlrev_b32_e32 v2, 1, v2
	v_mov_b32_e32 v4, s8
	v_add_co_u32_e64 v8, s[0:1], s4, v2
	v_addc_co_u32_e64 v2, s[0:1], 0, v4, s[0:1]
	v_cndmask_b32_e32 v2, v2, v1, vcc
	v_cndmask_b32_e32 v1, v8, v3, vcc
	global_load_ushort v4, v[1:2], off
	v_lshlrev_b64 v[1:2], 1, v[5:6]
	v_mov_b32_e32 v3, s7
	v_add_co_u32_e32 v8, vcc, s5, v1
	v_addc_co_u32_e32 v3, vcc, v3, v2, vcc
	v_subrev_co_u32_e32 v1, vcc, s23, v5
	v_mov_b32_e32 v2, v6
	v_lshlrev_b64 v[1:2], 1, v[1:2]
	v_mov_b32_e32 v10, s8
	v_add_co_u32_e64 v1, s[0:1], s4, v1
	v_addc_co_u32_e64 v2, s[0:1], v10, v2, s[0:1]
	v_cndmask_b32_e32 v2, v2, v3, vcc
	v_cndmask_b32_e32 v1, v1, v8, vcc
	global_load_ushort v8, v[1:2], off
	v_add_u32_e32 v1, v5, v7
	v_mov_b32_e32 v2, v6
	v_lshlrev_b64 v[2:3], 1, v[1:2]
	v_mov_b32_e32 v10, s7
	v_add_co_u32_e32 v11, vcc, s5, v2
	v_addc_co_u32_e32 v10, vcc, v10, v3, vcc
	v_subrev_co_u32_e32 v2, vcc, s23, v1
	v_mov_b32_e32 v3, v6
	v_lshlrev_b64 v[2:3], 1, v[2:3]
	v_mov_b32_e32 v12, s8
	v_add_co_u32_e64 v2, s[0:1], s4, v2
	v_addc_co_u32_e64 v3, s[0:1], v12, v3, s[0:1]
	v_cndmask_b32_e32 v3, v3, v10, vcc
	v_cndmask_b32_e32 v2, v2, v11, vcc
	global_load_ushort v10, v[2:3], off
	v_add_u32_e32 v1, v1, v7
	v_mov_b32_e32 v2, v6
	;; [unrolled: 15-line block ×6, first 2 shown]
	v_lshlrev_b64 v[2:3], 1, v[1:2]
	v_mov_b32_e32 v15, s7
	v_add_co_u32_e32 v16, vcc, s5, v2
	v_addc_co_u32_e32 v3, vcc, v15, v3, vcc
	v_subrev_co_u32_e32 v1, vcc, s23, v1
	v_mov_b32_e32 v2, v6
	v_lshlrev_b64 v[1:2], 1, v[1:2]
	v_mov_b32_e32 v6, s8
	v_add_co_u32_e64 v1, s[0:1], s4, v1
	v_addc_co_u32_e64 v2, s[0:1], v6, v2, s[0:1]
	v_cndmask_b32_e32 v2, v2, v3, vcc
	v_cndmask_b32_e32 v1, v1, v16, vcc
	global_load_ushort v6, v[1:2], off
	s_mov_b32 s0, 0x5040100
	s_waitcnt vmcnt(6)
	v_perm_b32 v1, v8, v4, s0
	s_waitcnt vmcnt(4)
	v_perm_b32 v2, v11, v10, s0
	s_add_i32 s21, s33, s23
	s_waitcnt vmcnt(2)
	v_perm_b32 v3, v13, v12, s0
	s_waitcnt vmcnt(0)
	v_perm_b32 v4, v6, v14, s0
	s_cbranch_execz .LBB3_4
	s_branch .LBB3_21
.LBB3_3:
                                        ; implicit-def: $vgpr1_vgpr2_vgpr3_vgpr4
                                        ; implicit-def: $sgpr21
.LBB3_4:
	s_add_i32 s21, s33, s23
	v_mov_b32_e32 v1, 0
	v_cmp_gt_u32_e32 vcc, s21, v0
	v_mov_b32_e32 v2, v1
	v_mov_b32_e32 v3, v1
	;; [unrolled: 1-line block ×3, first 2 shown]
	s_and_saveexec_b64 s[0:1], vcc
	s_cbranch_execz .LBB3_6
; %bb.5:
	v_mov_b32_e32 v2, s7
	v_add_co_u32_e32 v4, vcc, s5, v9
	v_subrev_u32_e32 v3, s23, v0
	v_addc_co_u32_e32 v2, vcc, 0, v2, vcc
	v_lshlrev_b32_e32 v3, 1, v3
	v_mov_b32_e32 v6, s8
	v_add_co_u32_e32 v8, vcc, s4, v3
	v_addc_co_u32_e32 v3, vcc, 0, v6, vcc
	v_cmp_gt_u32_e32 vcc, s23, v0
	v_cndmask_b32_e32 v3, v3, v2, vcc
	v_cndmask_b32_e32 v2, v8, v4, vcc
	global_load_ushort v2, v[2:3], off
	v_mov_b32_e32 v11, v1
	v_mov_b32_e32 v12, v1
	v_mov_b32_e32 v13, v1
	s_waitcnt vmcnt(0)
	v_and_b32_e32 v10, 0xffff, v2
	v_mov_b32_e32 v1, v10
	v_mov_b32_e32 v2, v11
	v_mov_b32_e32 v3, v12
	v_mov_b32_e32 v4, v13
.LBB3_6:
	s_or_b64 exec, exec, s[0:1]
	v_cmp_gt_u32_e32 vcc, s21, v5
	s_and_saveexec_b64 s[2:3], vcc
	s_cbranch_execz .LBB3_8
; %bb.7:
	v_mov_b32_e32 v6, 0
	v_lshlrev_b64 v[10:11], 1, v[5:6]
	v_mov_b32_e32 v8, s7
	v_add_co_u32_e32 v12, vcc, s5, v10
	v_addc_co_u32_e32 v8, vcc, v8, v11, vcc
	v_subrev_co_u32_e32 v10, vcc, s23, v5
	v_mov_b32_e32 v11, v6
	v_lshlrev_b64 v[10:11], 1, v[10:11]
	v_mov_b32_e32 v6, s8
	v_add_co_u32_e64 v10, s[0:1], s4, v10
	v_addc_co_u32_e64 v6, s[0:1], v6, v11, s[0:1]
	v_cndmask_b32_e32 v11, v6, v8, vcc
	v_cndmask_b32_e32 v10, v10, v12, vcc
	global_load_ushort v6, v[10:11], off
	s_mov_b32 s0, 0x5040100
	s_waitcnt vmcnt(0)
	v_perm_b32 v1, v6, v1, s0
.LBB3_8:
	s_or_b64 exec, exec, s[2:3]
	v_add_u32_e32 v5, v5, v7
	v_cmp_gt_u32_e32 vcc, s21, v5
	s_and_saveexec_b64 s[2:3], vcc
	s_cbranch_execz .LBB3_10
; %bb.9:
	v_mov_b32_e32 v6, 0
	v_lshlrev_b64 v[10:11], 1, v[5:6]
	v_mov_b32_e32 v8, s7
	v_add_co_u32_e32 v12, vcc, s5, v10
	v_addc_co_u32_e32 v8, vcc, v8, v11, vcc
	v_subrev_co_u32_e32 v10, vcc, s23, v5
	v_mov_b32_e32 v11, v6
	v_lshlrev_b64 v[10:11], 1, v[10:11]
	v_mov_b32_e32 v6, s8
	v_add_co_u32_e64 v10, s[0:1], s4, v10
	v_addc_co_u32_e64 v6, s[0:1], v6, v11, s[0:1]
	v_cndmask_b32_e32 v11, v6, v8, vcc
	v_cndmask_b32_e32 v10, v10, v12, vcc
	global_load_ushort v6, v[10:11], off
	s_mov_b32 s0, 0xffff
	s_waitcnt vmcnt(0)
	v_bfi_b32 v2, s0, v6, v2
.LBB3_10:
	s_or_b64 exec, exec, s[2:3]
	v_add_u32_e32 v5, v5, v7
	v_cmp_gt_u32_e32 vcc, s21, v5
	s_and_saveexec_b64 s[2:3], vcc
	s_cbranch_execz .LBB3_12
; %bb.11:
	v_mov_b32_e32 v6, 0
	v_lshlrev_b64 v[10:11], 1, v[5:6]
	v_mov_b32_e32 v8, s7
	v_add_co_u32_e32 v12, vcc, s5, v10
	v_addc_co_u32_e32 v8, vcc, v8, v11, vcc
	v_subrev_co_u32_e32 v10, vcc, s23, v5
	v_mov_b32_e32 v11, v6
	v_lshlrev_b64 v[10:11], 1, v[10:11]
	v_mov_b32_e32 v6, s8
	v_add_co_u32_e64 v10, s[0:1], s4, v10
	v_addc_co_u32_e64 v6, s[0:1], v6, v11, s[0:1]
	v_cndmask_b32_e32 v11, v6, v8, vcc
	v_cndmask_b32_e32 v10, v10, v12, vcc
	global_load_ushort v6, v[10:11], off
	s_mov_b32 s0, 0x5040100
	s_waitcnt vmcnt(0)
	v_perm_b32 v2, v6, v2, s0
.LBB3_12:
	s_or_b64 exec, exec, s[2:3]
	v_add_u32_e32 v5, v5, v7
	v_cmp_gt_u32_e32 vcc, s21, v5
	s_and_saveexec_b64 s[2:3], vcc
	s_cbranch_execz .LBB3_14
; %bb.13:
	v_mov_b32_e32 v6, 0
	v_lshlrev_b64 v[10:11], 1, v[5:6]
	v_mov_b32_e32 v8, s7
	v_add_co_u32_e32 v12, vcc, s5, v10
	v_addc_co_u32_e32 v8, vcc, v8, v11, vcc
	v_subrev_co_u32_e32 v10, vcc, s23, v5
	v_mov_b32_e32 v11, v6
	v_lshlrev_b64 v[10:11], 1, v[10:11]
	v_mov_b32_e32 v6, s8
	v_add_co_u32_e64 v10, s[0:1], s4, v10
	v_addc_co_u32_e64 v6, s[0:1], v6, v11, s[0:1]
	v_cndmask_b32_e32 v11, v6, v8, vcc
	v_cndmask_b32_e32 v10, v10, v12, vcc
	global_load_ushort v6, v[10:11], off
	s_mov_b32 s0, 0xffff
	s_waitcnt vmcnt(0)
	v_bfi_b32 v3, s0, v6, v3
.LBB3_14:
	s_or_b64 exec, exec, s[2:3]
	v_add_u32_e32 v5, v5, v7
	;; [unrolled: 48-line block ×3, first 2 shown]
	v_cmp_gt_u32_e32 vcc, s21, v5
	s_and_saveexec_b64 s[2:3], vcc
	s_cbranch_execz .LBB3_20
; %bb.19:
	v_mov_b32_e32 v6, 0
	v_lshlrev_b64 v[7:8], 1, v[5:6]
	v_mov_b32_e32 v10, s7
	v_add_co_u32_e32 v7, vcc, s5, v7
	v_addc_co_u32_e32 v8, vcc, v10, v8, vcc
	v_subrev_co_u32_e32 v5, vcc, s23, v5
	v_lshlrev_b64 v[5:6], 1, v[5:6]
	v_mov_b32_e32 v10, s8
	v_add_co_u32_e64 v5, s[0:1], s4, v5
	v_addc_co_u32_e64 v6, s[0:1], v10, v6, s[0:1]
	v_cndmask_b32_e32 v6, v6, v8, vcc
	v_cndmask_b32_e32 v5, v5, v7, vcc
	global_load_ushort v5, v[5:6], off
	s_mov_b32 s0, 0x5040100
	s_waitcnt vmcnt(0)
	v_perm_b32 v4, v5, v4, s0
.LBB3_20:
	s_or_b64 exec, exec, s[2:3]
.LBB3_21:
	v_lshlrev_b32_e32 v10, 3, v0
	v_min_u32_e32 v6, s21, v10
	v_sub_u32_e64 v5, v6, s33 clamp
	v_min_u32_e32 v7, s23, v6
	v_cmp_lt_u32_e32 vcc, v5, v7
	ds_write_b16 v9, v1
	ds_write_b16_d16_hi v9, v1 offset:256
	ds_write_b16 v9, v2 offset:512
	ds_write_b16_d16_hi v9, v2 offset:768
	ds_write_b16 v9, v3 offset:1024
	;; [unrolled: 2-line block ×3, first 2 shown]
	ds_write_b16_d16_hi v9, v4 offset:1792
	s_waitcnt lgkmcnt(0)
	s_barrier
	s_and_saveexec_b64 s[0:1], vcc
	s_cbranch_execz .LBB3_25
; %bb.22:
	v_lshlrev_b32_e32 v8, 1, v6
	v_lshl_add_u32 v8, s23, 1, v8
	s_mov_b64 s[2:3], 0
.LBB3_23:                               ; =>This Inner Loop Header: Depth=1
	v_add_u32_e32 v11, v7, v5
	v_lshrrev_b32_e32 v12, 1, v11
	v_not_b32_e32 v13, v12
	v_and_b32_e32 v11, -2, v11
	v_lshl_add_u32 v13, v13, 1, v8
	ds_read_u16 v11, v11
	ds_read_u16 v13, v13
	v_add_u32_e32 v14, 1, v12
	s_waitcnt lgkmcnt(0)
	v_cmp_gt_u16_e32 vcc, v13, v11
	v_cndmask_b32_e32 v7, v7, v12, vcc
	v_cndmask_b32_e32 v5, v14, v5, vcc
	v_cmp_ge_u32_e32 vcc, v5, v7
	s_or_b64 s[2:3], vcc, s[2:3]
	s_andn2_b64 exec, exec, s[2:3]
	s_cbranch_execnz .LBB3_23
; %bb.24:
	s_or_b64 exec, exec, s[2:3]
.LBB3_25:
	s_or_b64 exec, exec, s[0:1]
	v_sub_u32_e32 v6, v6, v5
	v_add_u32_e32 v6, s23, v6
	v_cmp_ge_u32_e32 vcc, s23, v5
	v_cmp_ge_u32_e64 s[0:1], s21, v6
	s_or_b64 s[0:1], vcc, s[0:1]
	v_mov_b32_e32 v11, 0
	v_mov_b32_e32 v12, 0
	;; [unrolled: 1-line block ×8, first 2 shown]
	s_and_saveexec_b64 s[30:31], s[0:1]
	s_cbranch_execz .LBB3_31
; %bb.26:
	v_cmp_gt_u32_e32 vcc, s23, v5
                                        ; implicit-def: $vgpr1
	s_and_saveexec_b64 s[0:1], vcc
; %bb.27:
	v_lshlrev_b32_e32 v1, 1, v5
	ds_read_u16 v1, v1
; %bb.28:
	s_or_b64 exec, exec, s[0:1]
	v_cmp_le_u32_e64 s[0:1], s21, v6
	v_cmp_gt_u32_e64 s[2:3], s21, v6
                                        ; implicit-def: $vgpr2
	s_and_saveexec_b64 s[4:5], s[2:3]
; %bb.29:
	v_lshlrev_b32_e32 v2, 1, v6
	ds_read_u16 v2, v2
; %bb.30:
	s_or_b64 exec, exec, s[4:5]
	s_waitcnt lgkmcnt(0)
	v_cmp_le_u16_e64 s[2:3], v2, v1
	s_and_b64 s[2:3], vcc, s[2:3]
	s_or_b64 vcc, s[0:1], s[2:3]
	v_mov_b32_e32 v3, s21
	v_mov_b32_e32 v4, s23
	v_cndmask_b32_e32 v18, v6, v5, vcc
	v_cndmask_b32_e32 v7, v3, v4, vcc
	v_add_u32_e32 v8, 1, v18
	v_add_u32_e32 v7, -1, v7
	v_min_u32_e32 v7, v8, v7
	v_lshlrev_b32_e32 v7, 1, v7
	ds_read_u16 v7, v7
	v_cndmask_b32_e32 v5, v5, v8, vcc
	v_cndmask_b32_e32 v6, v8, v6, vcc
	v_cmp_gt_u32_e64 s[2:3], s23, v5
	v_cmp_le_u32_e64 s[0:1], s21, v6
	s_waitcnt lgkmcnt(0)
	v_cndmask_b32_e32 v11, v7, v2, vcc
	v_cndmask_b32_e32 v7, v1, v7, vcc
	v_cmp_le_u16_e64 s[4:5], v11, v7
	s_and_b64 s[2:3], s[2:3], s[4:5]
	s_or_b64 s[0:1], s[0:1], s[2:3]
	v_cndmask_b32_e64 v17, v6, v5, s[0:1]
	v_cndmask_b32_e64 v8, v3, v4, s[0:1]
	v_add_u32_e32 v12, 1, v17
	v_add_u32_e32 v8, -1, v8
	v_min_u32_e32 v8, v12, v8
	v_lshlrev_b32_e32 v8, 1, v8
	ds_read_u16 v8, v8
	v_cndmask_b32_e64 v5, v5, v12, s[0:1]
	v_cndmask_b32_e64 v6, v12, v6, s[0:1]
	v_cmp_gt_u32_e64 s[4:5], s23, v5
	v_cmp_le_u32_e64 s[2:3], s21, v6
	s_waitcnt lgkmcnt(0)
	v_cndmask_b32_e64 v19, v8, v11, s[0:1]
	v_cndmask_b32_e64 v8, v7, v8, s[0:1]
	v_cmp_le_u16_e64 s[6:7], v19, v8
	s_and_b64 s[4:5], s[4:5], s[6:7]
	s_or_b64 s[2:3], s[2:3], s[4:5]
	v_cndmask_b32_e64 v16, v6, v5, s[2:3]
	v_cndmask_b32_e64 v12, v3, v4, s[2:3]
	v_add_u32_e32 v13, 1, v16
	v_add_u32_e32 v12, -1, v12
	v_min_u32_e32 v12, v13, v12
	v_lshlrev_b32_e32 v12, 1, v12
	ds_read_u16 v12, v12
	v_cndmask_b32_e64 v5, v5, v13, s[2:3]
	v_cndmask_b32_e64 v6, v13, v6, s[2:3]
	v_cmp_gt_u32_e64 s[6:7], s23, v5
	v_cmp_le_u32_e64 s[4:5], s21, v6
	s_waitcnt lgkmcnt(0)
	v_cndmask_b32_e64 v20, v12, v19, s[2:3]
	v_cndmask_b32_e64 v21, v8, v12, s[2:3]
	;; [unrolled: 17-line block ×4, first 2 shown]
	v_cmp_le_u16_e64 s[12:13], v24, v25
	s_and_b64 s[10:11], s[10:11], s[12:13]
	s_or_b64 s[8:9], s[8:9], s[10:11]
	v_cndmask_b32_e64 v13, v6, v5, s[8:9]
	v_cndmask_b32_e64 v12, v3, v4, s[8:9]
	v_add_u32_e32 v26, 1, v13
	v_add_u32_e32 v12, -1, v12
	v_min_u32_e32 v12, v26, v12
	v_lshlrev_b32_e32 v12, 1, v12
	ds_read_u16 v12, v12
	v_cndmask_b32_e32 v1, v2, v1, vcc
	v_cndmask_b32_e64 v7, v11, v7, s[0:1]
	v_cndmask_b32_e64 v2, v19, v8, s[2:3]
	v_cndmask_b32_e64 v5, v5, v26, s[8:9]
	s_waitcnt lgkmcnt(0)
	v_cndmask_b32_e64 v8, v12, v24, s[8:9]
	v_cndmask_b32_e64 v11, v25, v12, s[8:9]
	v_cndmask_b32_e64 v6, v26, v6, s[8:9]
	v_cmp_gt_u32_e64 s[0:1], s23, v5
	v_cmp_le_u16_e64 s[2:3], v8, v11
	v_cmp_le_u32_e32 vcc, s21, v6
	s_and_b64 s[0:1], s[0:1], s[2:3]
	s_or_b64 vcc, vcc, s[0:1]
	v_cndmask_b32_e32 v12, v6, v5, vcc
	v_cndmask_b32_e32 v3, v3, v4, vcc
	v_add_u32_e32 v4, 1, v12
	v_add_u32_e32 v3, -1, v3
	v_min_u32_e32 v3, v4, v3
	v_lshlrev_b32_e32 v3, 1, v3
	ds_read_u16 v3, v3
	v_cndmask_b32_e64 v19, v20, v21, s[4:5]
	v_cndmask_b32_e64 v20, v22, v23, s[6:7]
	v_cndmask_b32_e32 v22, v8, v11, vcc
	v_cndmask_b32_e32 v6, v4, v6, vcc
	s_waitcnt lgkmcnt(0)
	v_cndmask_b32_e32 v8, v3, v8, vcc
	v_cndmask_b32_e32 v3, v11, v3, vcc
	;; [unrolled: 1-line block ×3, first 2 shown]
	v_cmp_gt_u32_e64 s[0:1], s23, v4
	v_cmp_le_u16_e64 s[2:3], v8, v3
	v_cmp_le_u32_e32 vcc, s21, v6
	s_and_b64 s[0:1], s[0:1], s[2:3]
	s_or_b64 vcc, vcc, s[0:1]
	v_cndmask_b32_e64 v21, v24, v25, s[8:9]
	v_cndmask_b32_e32 v3, v8, v3, vcc
	s_mov_b32 s0, 0x5040100
	v_cndmask_b32_e32 v11, v6, v4, vcc
	v_perm_b32 v4, v3, v22, s0
	v_perm_b32 v3, v21, v20, s0
	;; [unrolled: 1-line block ×4, first 2 shown]
.LBB3_31:
	s_or_b64 exec, exec, s[30:31]
	s_lshl_b64 s[0:1], s[26:27], 3
	s_add_u32 s8, s16, s0
	s_addc_u32 s9, s17, s1
	s_lshl_b64 s[0:1], s[28:29], 3
	s_add_u32 s6, s16, s0
	v_cndmask_b32_e64 v5, 0, 1, s[24:25]
	s_addc_u32 s7, s17, s1
	v_cmp_gt_u32_e64 s[4:5], s23, v0
	v_cmp_ne_u32_e64 s[0:1], 1, v5
	s_andn2_b64 vcc, exec, s[24:25]
	v_cmp_le_u32_e64 s[2:3], s23, v0
	s_barrier
	s_cbranch_vccnz .LBB3_33
; %bb.32:
	v_mov_b32_e32 v5, s9
	v_add_co_u32_e32 v7, vcc, s8, v10
	v_subrev_u32_e32 v6, s23, v0
	v_addc_co_u32_e32 v5, vcc, 0, v5, vcc
	v_lshlrev_b32_e32 v6, 3, v6
	v_mov_b32_e32 v8, s7
	v_add_co_u32_e32 v19, vcc, s6, v6
	v_addc_co_u32_e32 v6, vcc, 0, v8, vcc
	v_cndmask_b32_e64 v6, v6, v5, s[4:5]
	v_cndmask_b32_e64 v5, v19, v7, s[4:5]
	v_or_b32_e32 v7, 0x80, v0
	v_subrev_u32_e32 v8, s23, v7
	v_min_u32_e32 v8, v7, v8
	v_cmp_gt_u32_e32 vcc, s23, v7
	v_mov_b32_e32 v31, s6
	v_mov_b32_e32 v32, s8
	;; [unrolled: 1-line block ×4, first 2 shown]
	v_cndmask_b32_e32 v7, v31, v32, vcc
	v_lshlrev_b32_e32 v8, 3, v8
	v_cndmask_b32_e32 v19, v29, v30, vcc
	v_add_co_u32_e32 v7, vcc, v7, v8
	v_addc_co_u32_e32 v8, vcc, 0, v19, vcc
	v_or_b32_e32 v19, 0x100, v0
	v_subrev_u32_e32 v20, s23, v19
	v_min_u32_e32 v20, v19, v20
	v_cmp_gt_u32_e32 vcc, s23, v19
	v_cndmask_b32_e32 v19, v31, v32, vcc
	v_lshlrev_b32_e32 v20, 3, v20
	v_cndmask_b32_e32 v21, v29, v30, vcc
	v_add_co_u32_e32 v19, vcc, v19, v20
	v_addc_co_u32_e32 v20, vcc, 0, v21, vcc
	v_or_b32_e32 v21, 0x180, v0
	v_subrev_u32_e32 v22, s23, v21
	v_min_u32_e32 v22, v21, v22
	v_cmp_gt_u32_e32 vcc, s23, v21
	;; [unrolled: 9-line block ×5, first 2 shown]
	global_load_dwordx2 v[5:6], v[5:6], off
	v_cndmask_b32_e32 v27, v31, v32, vcc
	global_load_dwordx2 v[7:8], v[7:8], off
	v_lshlrev_b32_e32 v28, 3, v28
	global_load_dwordx2 v[19:20], v[19:20], off
	v_cndmask_b32_e32 v33, v29, v30, vcc
	global_load_dwordx2 v[21:22], v[21:22], off
	v_add_co_u32_e32 v27, vcc, v27, v28
	global_load_dwordx2 v[23:24], v[23:24], off
	v_addc_co_u32_e32 v28, vcc, 0, v33, vcc
	global_load_dwordx2 v[25:26], v[25:26], off
	s_nop 0
	global_load_dwordx2 v[27:28], v[27:28], off
	s_mov_b64 s[4:5], -1
	s_waitcnt vmcnt(5)
	ds_write2st64_b64 v10, v[5:6], v[7:8] offset1:2
	s_waitcnt vmcnt(3)
	ds_write2st64_b64 v10, v[19:20], v[21:22] offset0:4 offset1:6
	s_waitcnt vmcnt(1)
	ds_write2st64_b64 v10, v[23:24], v[25:26] offset0:8 offset1:10
	s_waitcnt vmcnt(0)
	ds_write_b64 v10, v[27:28] offset:6144
	v_or_b32_e32 v19, 0x380, v0
	v_subrev_u32_e32 v5, s23, v19
	v_cmp_gt_u32_e32 vcc, s23, v19
	v_min_u32_e32 v7, v19, v5
	v_cndmask_b32_e32 v6, v29, v30, vcc
	v_cndmask_b32_e32 v5, v31, v32, vcc
	s_cbranch_execz .LBB3_34
	s_branch .LBB3_67
.LBB3_33:
	s_mov_b64 s[4:5], 0
                                        ; implicit-def: $vgpr19
                                        ; implicit-def: $vgpr5_vgpr6
                                        ; implicit-def: $vgpr7
.LBB3_34:
	s_and_saveexec_b64 s[4:5], s[2:3]
	s_xor_b64 s[2:3], exec, s[4:5]
	s_cbranch_execz .LBB3_38
; %bb.35:
	v_subrev_u32_e32 v5, s23, v0
	v_cmp_gt_u32_e32 vcc, s33, v5
	s_and_saveexec_b64 s[4:5], vcc
	s_cbranch_execz .LBB3_37
; %bb.36:
	v_lshlrev_b32_e32 v5, 3, v5
	global_load_dwordx2 v[5:6], v5, s[6:7]
	s_waitcnt vmcnt(0)
	ds_write_b64 v10, v[5:6]
.LBB3_37:
	s_or_b64 exec, exec, s[4:5]
.LBB3_38:
	s_or_saveexec_b64 s[2:3], s[2:3]
	v_mad_u32_u24 v7, v0, 6, v9
	s_xor_b64 exec, exec, s[2:3]
	s_cbranch_execz .LBB3_40
; %bb.39:
	global_load_dwordx2 v[5:6], v10, s[8:9]
	s_waitcnt vmcnt(0)
	ds_write_b64 v7, v[5:6]
.LBB3_40:
	s_or_b64 exec, exec, s[2:3]
	v_or_b32_e32 v8, 0x80, v0
	v_mov_b32_e32 v5, s26
	v_cmp_le_u32_e32 vcc, s23, v8
	s_mov_b64 s[2:3], -1
	v_mov_b32_e32 v6, s27
	s_and_saveexec_b64 s[4:5], vcc
; %bb.41:
	v_subrev_u32_e32 v8, s23, v8
	v_cmp_gt_u32_e32 vcc, s33, v8
	v_mov_b32_e32 v5, s28
	v_mov_b32_e32 v6, s29
	s_orn2_b64 s[2:3], vcc, exec
; %bb.42:
	s_or_b64 exec, exec, s[4:5]
	s_and_saveexec_b64 s[4:5], s[2:3]
	s_cbranch_execz .LBB3_44
; %bb.43:
	v_lshlrev_b64 v[5:6], 3, v[5:6]
	v_mov_b32_e32 v19, s17
	v_add_co_u32_e32 v5, vcc, s16, v5
	v_addc_co_u32_e32 v6, vcc, v19, v6, vcc
	v_lshlrev_b32_e32 v8, 3, v8
	v_add_co_u32_e32 v5, vcc, v5, v8
	v_addc_co_u32_e32 v6, vcc, 0, v6, vcc
	global_load_dwordx2 v[5:6], v[5:6], off
	s_waitcnt vmcnt(0)
	ds_write_b64 v7, v[5:6] offset:1024
.LBB3_44:
	s_or_b64 exec, exec, s[4:5]
	v_or_b32_e32 v8, 0x100, v0
	v_mov_b32_e32 v5, s26
	v_cmp_le_u32_e32 vcc, s23, v8
	s_mov_b64 s[2:3], -1
	v_mov_b32_e32 v6, s27
	s_and_saveexec_b64 s[4:5], vcc
; %bb.45:
	v_subrev_u32_e32 v8, s23, v8
	v_cmp_gt_u32_e32 vcc, s33, v8
	v_mov_b32_e32 v5, s28
	v_mov_b32_e32 v6, s29
	s_orn2_b64 s[2:3], vcc, exec
; %bb.46:
	s_or_b64 exec, exec, s[4:5]
	s_and_saveexec_b64 s[4:5], s[2:3]
	s_cbranch_execz .LBB3_48
; %bb.47:
	v_lshlrev_b64 v[5:6], 3, v[5:6]
	v_mov_b32_e32 v19, s17
	v_add_co_u32_e32 v5, vcc, s16, v5
	v_addc_co_u32_e32 v6, vcc, v19, v6, vcc
	v_lshlrev_b32_e32 v8, 3, v8
	v_add_co_u32_e32 v5, vcc, v5, v8
	v_addc_co_u32_e32 v6, vcc, 0, v6, vcc
	global_load_dwordx2 v[5:6], v[5:6], off
	s_waitcnt vmcnt(0)
	ds_write_b64 v7, v[5:6] offset:2048
.LBB3_48:
	;; [unrolled: 29-line block ×6, first 2 shown]
	s_or_b64 exec, exec, s[4:5]
	v_or_b32_e32 v19, 0x380, v0
	v_mov_b32_e32 v5, s8
	v_cmp_le_u32_e32 vcc, s23, v19
	s_mov_b64 s[4:5], -1
	v_mov_b32_e32 v6, s9
	v_mov_b32_e32 v7, v19
	s_and_saveexec_b64 s[2:3], vcc
; %bb.65:
	v_subrev_u32_e32 v7, s23, v19
	v_cmp_gt_u32_e32 vcc, s33, v7
	v_mov_b32_e32 v5, s6
	v_mov_b32_e32 v6, s7
	s_orn2_b64 s[4:5], vcc, exec
; %bb.66:
	s_or_b64 exec, exec, s[2:3]
.LBB3_67:
	s_and_saveexec_b64 s[2:3], s[4:5]
	s_cbranch_execz .LBB3_69
; %bb.68:
	v_mov_b32_e32 v8, 0
	v_lshlrev_b64 v[7:8], 3, v[7:8]
	v_add_co_u32_e32 v5, vcc, v5, v7
	v_addc_co_u32_e32 v6, vcc, v6, v8, vcc
	global_load_dwordx2 v[5:6], v[5:6], off
	v_lshlrev_b32_e32 v7, 3, v19
	s_waitcnt vmcnt(0)
	ds_write_b64 v7, v[5:6]
.LBB3_69:
	s_or_b64 exec, exec, s[2:3]
	s_and_b64 vcc, exec, s[0:1]
	v_add_u32_e32 v5, s22, v10
	s_waitcnt lgkmcnt(0)
	s_barrier
	s_cbranch_vccnz .LBB3_71
; %bb.70:
	v_lshlrev_b32_e32 v19, 3, v18
	v_lshlrev_b32_e32 v21, 3, v17
	v_lshlrev_b32_e32 v23, 3, v16
	v_lshlrev_b32_e32 v25, 3, v15
	v_lshlrev_b32_e32 v27, 3, v14
	v_lshlrev_b32_e32 v29, 3, v13
	v_lshlrev_b32_e32 v31, 3, v12
	v_mov_b32_e32 v6, 0
	ds_read_b64 v[19:20], v19
	ds_read_b64 v[21:22], v21
	;; [unrolled: 1-line block ×7, first 2 shown]
	v_lshlrev_b64 v[7:8], 3, v[5:6]
	v_mov_b32_e32 v33, s19
	v_add_co_u32_e32 v7, vcc, s18, v7
	v_addc_co_u32_e32 v8, vcc, v33, v8, vcc
	s_mov_b64 s[0:1], -1
	s_waitcnt lgkmcnt(5)
	global_store_dwordx4 v[7:8], v[19:22], off
	s_waitcnt lgkmcnt(3)
	global_store_dwordx4 v[7:8], v[23:26], off offset:16
	s_waitcnt lgkmcnt(1)
	global_store_dwordx4 v[7:8], v[27:30], off offset:32
	s_waitcnt lgkmcnt(0)
	global_store_dwordx2 v[7:8], v[31:32], off offset:48
	s_cbranch_execz .LBB3_72
	s_branch .LBB3_89
.LBB3_71:
	s_mov_b64 s[0:1], 0
.LBB3_72:
	v_cmp_gt_u32_e32 vcc, s21, v10
	s_and_saveexec_b64 s[2:3], vcc
	s_cbranch_execz .LBB3_74
; %bb.73:
	v_lshlrev_b32_e32 v8, 3, v18
	v_mov_b32_e32 v6, 0
	ds_read_b64 v[18:19], v8
	v_lshlrev_b64 v[6:7], 3, v[5:6]
	v_mov_b32_e32 v20, s19
	v_add_co_u32_e32 v6, vcc, s18, v6
	v_addc_co_u32_e32 v7, vcc, v20, v7, vcc
	s_waitcnt lgkmcnt(0)
	global_store_dwordx2 v[6:7], v[18:19], off
.LBB3_74:
	s_or_b64 exec, exec, s[2:3]
	v_or_b32_e32 v6, 1, v10
	v_cmp_gt_u32_e32 vcc, s21, v6
	s_and_saveexec_b64 s[2:3], vcc
	s_cbranch_execz .LBB3_76
; %bb.75:
	v_lshlrev_b32_e32 v8, 3, v17
	v_mov_b32_e32 v6, 0
	ds_read_b64 v[17:18], v8
	v_lshlrev_b64 v[6:7], 3, v[5:6]
	v_mov_b32_e32 v19, s19
	v_add_co_u32_e32 v6, vcc, s18, v6
	v_addc_co_u32_e32 v7, vcc, v19, v7, vcc
	s_waitcnt lgkmcnt(0)
	global_store_dwordx2 v[6:7], v[17:18], off offset:8
.LBB3_76:
	s_or_b64 exec, exec, s[2:3]
	v_or_b32_e32 v6, 2, v10
	v_cmp_gt_u32_e32 vcc, s21, v6
	s_and_saveexec_b64 s[2:3], vcc
	s_cbranch_execz .LBB3_78
; %bb.77:
	v_lshlrev_b32_e32 v8, 3, v16
	v_mov_b32_e32 v6, 0
	ds_read_b64 v[16:17], v8
	v_lshlrev_b64 v[6:7], 3, v[5:6]
	v_mov_b32_e32 v18, s19
	v_add_co_u32_e32 v6, vcc, s18, v6
	v_addc_co_u32_e32 v7, vcc, v18, v7, vcc
	s_waitcnt lgkmcnt(0)
	global_store_dwordx2 v[6:7], v[16:17], off offset:16
.LBB3_78:
	;; [unrolled: 16-line block ×6, first 2 shown]
	s_or_b64 exec, exec, s[2:3]
	v_or_b32_e32 v6, 7, v10
	v_cmp_gt_u32_e32 vcc, s21, v6
	s_and_saveexec_b64 s[2:3], vcc
; %bb.87:
	v_mov_b32_e32 v6, 0
	s_or_b64 s[0:1], s[0:1], exec
; %bb.88:
	s_or_b64 exec, exec, s[2:3]
.LBB3_89:
	s_and_saveexec_b64 s[2:3], s[0:1]
	s_cbranch_execz .LBB3_91
; %bb.90:
	v_lshlrev_b32_e32 v7, 3, v11
	ds_read_b64 v[7:8], v7
	v_lshlrev_b64 v[5:6], 3, v[5:6]
	v_mov_b32_e32 v11, s19
	v_add_co_u32_e32 v5, vcc, s18, v5
	v_addc_co_u32_e32 v6, vcc, v11, v6, vcc
	s_waitcnt lgkmcnt(0)
	global_store_dwordx2 v[5:6], v[7:8], off offset:56
.LBB3_91:
	s_or_b64 exec, exec, s[2:3]
	v_lshrrev_b32_e32 v5, 1, v0
	v_and_b32_e32 v5, 60, v5
	v_lshl_add_u32 v5, v10, 1, v5
	s_waitcnt vmcnt(0)
	s_barrier
	s_barrier
	ds_write2_b32 v5, v1, v2 offset1:1
	ds_write2_b32 v5, v3, v4 offset0:2 offset1:3
	v_lshrrev_b32_e32 v1, 4, v0
	v_and_b32_e32 v1, 4, v1
	v_or_b32_e32 v11, 0x80, v0
	v_add_u32_e32 v12, v1, v9
	v_lshrrev_b32_e32 v1, 4, v11
	v_and_b32_e32 v1, 12, v1
	v_or_b32_e32 v10, 0x100, v0
	v_add_u32_e32 v13, v1, v9
	;; [unrolled: 4-line block ×5, first 2 shown]
	v_lshrrev_b32_e32 v1, 4, v5
	v_and_b32_e32 v1, 44, v1
	v_or_b32_e32 v4, 0x300, v0
	s_mov_b32 s23, 0
	v_add_u32_e32 v17, v1, v9
	v_lshrrev_b32_e32 v1, 4, v4
	s_lshl_b64 s[0:1], s[22:23], 1
	v_and_b32_e32 v1, 52, v1
	v_or_b32_e32 v3, 0x380, v0
	s_add_u32 s0, s14, s0
	v_add_u32_e32 v18, v1, v9
	v_lshrrev_b32_e32 v1, 4, v3
	s_addc_u32 s1, s15, s1
	v_and_b32_e32 v1, 60, v1
	v_add_u32_e32 v19, v1, v9
	v_mov_b32_e32 v2, s1
	v_add_co_u32_e32 v1, vcc, s0, v9
	v_addc_co_u32_e32 v2, vcc, 0, v2, vcc
	s_and_b64 vcc, exec, s[24:25]
	s_waitcnt lgkmcnt(0)
	s_cbranch_vccz .LBB3_93
; %bb.92:
	s_barrier
	ds_read_u16 v9, v12
	ds_read_u16 v20, v13 offset:256
	ds_read_u16 v21, v14 offset:512
	;; [unrolled: 1-line block ×7, first 2 shown]
	s_waitcnt lgkmcnt(7)
	global_store_short v[1:2], v9, off
	s_waitcnt lgkmcnt(6)
	global_store_short v[1:2], v20, off offset:256
	s_waitcnt lgkmcnt(5)
	global_store_short v[1:2], v21, off offset:512
	;; [unrolled: 2-line block ×6, first 2 shown]
	s_mov_b64 s[0:1], -1
	s_cbranch_execz .LBB3_94
	s_branch .LBB3_103
.LBB3_93:
	s_mov_b64 s[0:1], 0
                                        ; implicit-def: $vgpr7
.LBB3_94:
	s_waitcnt vmcnt(0) lgkmcnt(0)
	s_barrier
	ds_read_u16 v21, v13 offset:256
	ds_read_u16 v20, v14 offset:512
	;; [unrolled: 1-line block ×7, first 2 shown]
	s_sub_i32 s2, s20, s22
	v_cmp_gt_u32_e32 vcc, s2, v0
	s_and_saveexec_b64 s[0:1], vcc
	s_cbranch_execnz .LBB3_106
; %bb.95:
	s_or_b64 exec, exec, s[0:1]
	v_cmp_gt_u32_e32 vcc, s2, v11
	s_and_saveexec_b64 s[0:1], vcc
	s_cbranch_execnz .LBB3_107
.LBB3_96:
	s_or_b64 exec, exec, s[0:1]
	v_cmp_gt_u32_e32 vcc, s2, v10
	s_and_saveexec_b64 s[0:1], vcc
	s_cbranch_execnz .LBB3_108
.LBB3_97:
	s_or_b64 exec, exec, s[0:1]
	v_cmp_gt_u32_e32 vcc, s2, v8
	s_and_saveexec_b64 s[0:1], vcc
	s_cbranch_execnz .LBB3_109
.LBB3_98:
	s_or_b64 exec, exec, s[0:1]
	v_cmp_gt_u32_e32 vcc, s2, v6
	s_and_saveexec_b64 s[0:1], vcc
	s_cbranch_execnz .LBB3_110
.LBB3_99:
	s_or_b64 exec, exec, s[0:1]
	v_cmp_gt_u32_e32 vcc, s2, v5
	s_and_saveexec_b64 s[0:1], vcc
	s_cbranch_execnz .LBB3_111
.LBB3_100:
	s_or_b64 exec, exec, s[0:1]
	v_cmp_gt_u32_e32 vcc, s2, v4
	s_and_saveexec_b64 s[0:1], vcc
	s_cbranch_execz .LBB3_102
.LBB3_101:
	s_waitcnt lgkmcnt(1)
	global_store_short v[1:2], v9, off offset:1536
.LBB3_102:
	s_or_b64 exec, exec, s[0:1]
	v_cmp_gt_u32_e64 s[0:1], s2, v3
.LBB3_103:
	s_and_saveexec_b64 s[2:3], s[0:1]
	s_cbranch_execz .LBB3_105
; %bb.104:
	s_waitcnt lgkmcnt(0)
	global_store_short v[1:2], v7, off offset:1792
.LBB3_105:
	s_endpgm
.LBB3_106:
	ds_read_u16 v0, v12
	s_waitcnt lgkmcnt(0)
	global_store_short v[1:2], v0, off
	s_or_b64 exec, exec, s[0:1]
	v_cmp_gt_u32_e32 vcc, s2, v11
	s_and_saveexec_b64 s[0:1], vcc
	s_cbranch_execz .LBB3_96
.LBB3_107:
	s_waitcnt lgkmcnt(6)
	global_store_short v[1:2], v21, off offset:256
	s_or_b64 exec, exec, s[0:1]
	v_cmp_gt_u32_e32 vcc, s2, v10
	s_and_saveexec_b64 s[0:1], vcc
	s_cbranch_execz .LBB3_97
.LBB3_108:
	s_waitcnt lgkmcnt(5)
	global_store_short v[1:2], v20, off offset:512
	s_or_b64 exec, exec, s[0:1]
	v_cmp_gt_u32_e32 vcc, s2, v8
	s_and_saveexec_b64 s[0:1], vcc
	s_cbranch_execz .LBB3_98
.LBB3_109:
	s_waitcnt lgkmcnt(4)
	global_store_short v[1:2], v15, off offset:768
	s_or_b64 exec, exec, s[0:1]
	v_cmp_gt_u32_e32 vcc, s2, v6
	s_and_saveexec_b64 s[0:1], vcc
	s_cbranch_execz .LBB3_99
.LBB3_110:
	s_waitcnt lgkmcnt(3)
	global_store_short v[1:2], v14, off offset:1024
	s_or_b64 exec, exec, s[0:1]
	v_cmp_gt_u32_e32 vcc, s2, v5
	s_and_saveexec_b64 s[0:1], vcc
	s_cbranch_execz .LBB3_100
.LBB3_111:
	s_waitcnt lgkmcnt(2)
	global_store_short v[1:2], v13, off offset:1280
	s_or_b64 exec, exec, s[0:1]
	v_cmp_gt_u32_e32 vcc, s2, v4
	s_and_saveexec_b64 s[0:1], vcc
	s_cbranch_execnz .LBB3_101
	s_branch .LBB3_102
	.section	.rodata,"a",@progbits
	.p2align	6, 0x0
	.amdhsa_kernel _ZN7rocprim17ROCPRIM_304000_NS6detail35device_block_merge_mergepath_kernelINS1_37wrapped_merge_sort_block_merge_configINS0_14default_configEtN2at4cuda3cub6detail10OpaqueTypeILi8EEEEEPtSC_PSA_SD_jNS1_19radix_merge_compareILb1ELb0EtNS0_19identity_decomposerEEEEEvT0_T1_T2_T3_T4_SL_jT5_PKSL_NS1_7vsmem_tE
		.amdhsa_group_segment_fixed_size 8208
		.amdhsa_private_segment_fixed_size 0
		.amdhsa_kernarg_size 320
		.amdhsa_user_sgpr_count 6
		.amdhsa_user_sgpr_private_segment_buffer 1
		.amdhsa_user_sgpr_dispatch_ptr 0
		.amdhsa_user_sgpr_queue_ptr 0
		.amdhsa_user_sgpr_kernarg_segment_ptr 1
		.amdhsa_user_sgpr_dispatch_id 0
		.amdhsa_user_sgpr_flat_scratch_init 0
		.amdhsa_user_sgpr_private_segment_size 0
		.amdhsa_uses_dynamic_stack 0
		.amdhsa_system_sgpr_private_segment_wavefront_offset 0
		.amdhsa_system_sgpr_workgroup_id_x 1
		.amdhsa_system_sgpr_workgroup_id_y 1
		.amdhsa_system_sgpr_workgroup_id_z 1
		.amdhsa_system_sgpr_workgroup_info 0
		.amdhsa_system_vgpr_workitem_id 0
		.amdhsa_next_free_vgpr 49
		.amdhsa_next_free_sgpr 98
		.amdhsa_reserve_vcc 1
		.amdhsa_reserve_flat_scratch 0
		.amdhsa_float_round_mode_32 0
		.amdhsa_float_round_mode_16_64 0
		.amdhsa_float_denorm_mode_32 3
		.amdhsa_float_denorm_mode_16_64 3
		.amdhsa_dx10_clamp 1
		.amdhsa_ieee_mode 1
		.amdhsa_fp16_overflow 0
		.amdhsa_exception_fp_ieee_invalid_op 0
		.amdhsa_exception_fp_denorm_src 0
		.amdhsa_exception_fp_ieee_div_zero 0
		.amdhsa_exception_fp_ieee_overflow 0
		.amdhsa_exception_fp_ieee_underflow 0
		.amdhsa_exception_fp_ieee_inexact 0
		.amdhsa_exception_int_div_zero 0
	.end_amdhsa_kernel
	.section	.text._ZN7rocprim17ROCPRIM_304000_NS6detail35device_block_merge_mergepath_kernelINS1_37wrapped_merge_sort_block_merge_configINS0_14default_configEtN2at4cuda3cub6detail10OpaqueTypeILi8EEEEEPtSC_PSA_SD_jNS1_19radix_merge_compareILb1ELb0EtNS0_19identity_decomposerEEEEEvT0_T1_T2_T3_T4_SL_jT5_PKSL_NS1_7vsmem_tE,"axG",@progbits,_ZN7rocprim17ROCPRIM_304000_NS6detail35device_block_merge_mergepath_kernelINS1_37wrapped_merge_sort_block_merge_configINS0_14default_configEtN2at4cuda3cub6detail10OpaqueTypeILi8EEEEEPtSC_PSA_SD_jNS1_19radix_merge_compareILb1ELb0EtNS0_19identity_decomposerEEEEEvT0_T1_T2_T3_T4_SL_jT5_PKSL_NS1_7vsmem_tE,comdat
.Lfunc_end3:
	.size	_ZN7rocprim17ROCPRIM_304000_NS6detail35device_block_merge_mergepath_kernelINS1_37wrapped_merge_sort_block_merge_configINS0_14default_configEtN2at4cuda3cub6detail10OpaqueTypeILi8EEEEEPtSC_PSA_SD_jNS1_19radix_merge_compareILb1ELb0EtNS0_19identity_decomposerEEEEEvT0_T1_T2_T3_T4_SL_jT5_PKSL_NS1_7vsmem_tE, .Lfunc_end3-_ZN7rocprim17ROCPRIM_304000_NS6detail35device_block_merge_mergepath_kernelINS1_37wrapped_merge_sort_block_merge_configINS0_14default_configEtN2at4cuda3cub6detail10OpaqueTypeILi8EEEEEPtSC_PSA_SD_jNS1_19radix_merge_compareILb1ELb0EtNS0_19identity_decomposerEEEEEvT0_T1_T2_T3_T4_SL_jT5_PKSL_NS1_7vsmem_tE
                                        ; -- End function
	.set _ZN7rocprim17ROCPRIM_304000_NS6detail35device_block_merge_mergepath_kernelINS1_37wrapped_merge_sort_block_merge_configINS0_14default_configEtN2at4cuda3cub6detail10OpaqueTypeILi8EEEEEPtSC_PSA_SD_jNS1_19radix_merge_compareILb1ELb0EtNS0_19identity_decomposerEEEEEvT0_T1_T2_T3_T4_SL_jT5_PKSL_NS1_7vsmem_tE.num_vgpr, 34
	.set _ZN7rocprim17ROCPRIM_304000_NS6detail35device_block_merge_mergepath_kernelINS1_37wrapped_merge_sort_block_merge_configINS0_14default_configEtN2at4cuda3cub6detail10OpaqueTypeILi8EEEEEPtSC_PSA_SD_jNS1_19radix_merge_compareILb1ELb0EtNS0_19identity_decomposerEEEEEvT0_T1_T2_T3_T4_SL_jT5_PKSL_NS1_7vsmem_tE.num_agpr, 0
	.set _ZN7rocprim17ROCPRIM_304000_NS6detail35device_block_merge_mergepath_kernelINS1_37wrapped_merge_sort_block_merge_configINS0_14default_configEtN2at4cuda3cub6detail10OpaqueTypeILi8EEEEEPtSC_PSA_SD_jNS1_19radix_merge_compareILb1ELb0EtNS0_19identity_decomposerEEEEEvT0_T1_T2_T3_T4_SL_jT5_PKSL_NS1_7vsmem_tE.numbered_sgpr, 34
	.set _ZN7rocprim17ROCPRIM_304000_NS6detail35device_block_merge_mergepath_kernelINS1_37wrapped_merge_sort_block_merge_configINS0_14default_configEtN2at4cuda3cub6detail10OpaqueTypeILi8EEEEEPtSC_PSA_SD_jNS1_19radix_merge_compareILb1ELb0EtNS0_19identity_decomposerEEEEEvT0_T1_T2_T3_T4_SL_jT5_PKSL_NS1_7vsmem_tE.num_named_barrier, 0
	.set _ZN7rocprim17ROCPRIM_304000_NS6detail35device_block_merge_mergepath_kernelINS1_37wrapped_merge_sort_block_merge_configINS0_14default_configEtN2at4cuda3cub6detail10OpaqueTypeILi8EEEEEPtSC_PSA_SD_jNS1_19radix_merge_compareILb1ELb0EtNS0_19identity_decomposerEEEEEvT0_T1_T2_T3_T4_SL_jT5_PKSL_NS1_7vsmem_tE.private_seg_size, 0
	.set _ZN7rocprim17ROCPRIM_304000_NS6detail35device_block_merge_mergepath_kernelINS1_37wrapped_merge_sort_block_merge_configINS0_14default_configEtN2at4cuda3cub6detail10OpaqueTypeILi8EEEEEPtSC_PSA_SD_jNS1_19radix_merge_compareILb1ELb0EtNS0_19identity_decomposerEEEEEvT0_T1_T2_T3_T4_SL_jT5_PKSL_NS1_7vsmem_tE.uses_vcc, 1
	.set _ZN7rocprim17ROCPRIM_304000_NS6detail35device_block_merge_mergepath_kernelINS1_37wrapped_merge_sort_block_merge_configINS0_14default_configEtN2at4cuda3cub6detail10OpaqueTypeILi8EEEEEPtSC_PSA_SD_jNS1_19radix_merge_compareILb1ELb0EtNS0_19identity_decomposerEEEEEvT0_T1_T2_T3_T4_SL_jT5_PKSL_NS1_7vsmem_tE.uses_flat_scratch, 0
	.set _ZN7rocprim17ROCPRIM_304000_NS6detail35device_block_merge_mergepath_kernelINS1_37wrapped_merge_sort_block_merge_configINS0_14default_configEtN2at4cuda3cub6detail10OpaqueTypeILi8EEEEEPtSC_PSA_SD_jNS1_19radix_merge_compareILb1ELb0EtNS0_19identity_decomposerEEEEEvT0_T1_T2_T3_T4_SL_jT5_PKSL_NS1_7vsmem_tE.has_dyn_sized_stack, 0
	.set _ZN7rocprim17ROCPRIM_304000_NS6detail35device_block_merge_mergepath_kernelINS1_37wrapped_merge_sort_block_merge_configINS0_14default_configEtN2at4cuda3cub6detail10OpaqueTypeILi8EEEEEPtSC_PSA_SD_jNS1_19radix_merge_compareILb1ELb0EtNS0_19identity_decomposerEEEEEvT0_T1_T2_T3_T4_SL_jT5_PKSL_NS1_7vsmem_tE.has_recursion, 0
	.set _ZN7rocprim17ROCPRIM_304000_NS6detail35device_block_merge_mergepath_kernelINS1_37wrapped_merge_sort_block_merge_configINS0_14default_configEtN2at4cuda3cub6detail10OpaqueTypeILi8EEEEEPtSC_PSA_SD_jNS1_19radix_merge_compareILb1ELb0EtNS0_19identity_decomposerEEEEEvT0_T1_T2_T3_T4_SL_jT5_PKSL_NS1_7vsmem_tE.has_indirect_call, 0
	.section	.AMDGPU.csdata,"",@progbits
; Kernel info:
; codeLenInByte = 6092
; TotalNumSgprs: 38
; NumVgprs: 34
; ScratchSize: 0
; MemoryBound: 0
; FloatMode: 240
; IeeeMode: 1
; LDSByteSize: 8208 bytes/workgroup (compile time only)
; SGPRBlocks: 12
; VGPRBlocks: 12
; NumSGPRsForWavesPerEU: 102
; NumVGPRsForWavesPerEU: 49
; Occupancy: 4
; WaveLimiterHint : 1
; COMPUTE_PGM_RSRC2:SCRATCH_EN: 0
; COMPUTE_PGM_RSRC2:USER_SGPR: 6
; COMPUTE_PGM_RSRC2:TRAP_HANDLER: 0
; COMPUTE_PGM_RSRC2:TGID_X_EN: 1
; COMPUTE_PGM_RSRC2:TGID_Y_EN: 1
; COMPUTE_PGM_RSRC2:TGID_Z_EN: 1
; COMPUTE_PGM_RSRC2:TIDIG_COMP_CNT: 0
	.section	.text._ZN7rocprim17ROCPRIM_304000_NS6detail33device_block_merge_oddeven_kernelINS1_37wrapped_merge_sort_block_merge_configINS0_14default_configEtN2at4cuda3cub6detail10OpaqueTypeILi8EEEEEPtSC_PSA_SD_jNS1_19radix_merge_compareILb1ELb0EtNS0_19identity_decomposerEEEEEvT0_T1_T2_T3_T4_SL_T5_,"axG",@progbits,_ZN7rocprim17ROCPRIM_304000_NS6detail33device_block_merge_oddeven_kernelINS1_37wrapped_merge_sort_block_merge_configINS0_14default_configEtN2at4cuda3cub6detail10OpaqueTypeILi8EEEEEPtSC_PSA_SD_jNS1_19radix_merge_compareILb1ELb0EtNS0_19identity_decomposerEEEEEvT0_T1_T2_T3_T4_SL_T5_,comdat
	.protected	_ZN7rocprim17ROCPRIM_304000_NS6detail33device_block_merge_oddeven_kernelINS1_37wrapped_merge_sort_block_merge_configINS0_14default_configEtN2at4cuda3cub6detail10OpaqueTypeILi8EEEEEPtSC_PSA_SD_jNS1_19radix_merge_compareILb1ELb0EtNS0_19identity_decomposerEEEEEvT0_T1_T2_T3_T4_SL_T5_ ; -- Begin function _ZN7rocprim17ROCPRIM_304000_NS6detail33device_block_merge_oddeven_kernelINS1_37wrapped_merge_sort_block_merge_configINS0_14default_configEtN2at4cuda3cub6detail10OpaqueTypeILi8EEEEEPtSC_PSA_SD_jNS1_19radix_merge_compareILb1ELb0EtNS0_19identity_decomposerEEEEEvT0_T1_T2_T3_T4_SL_T5_
	.globl	_ZN7rocprim17ROCPRIM_304000_NS6detail33device_block_merge_oddeven_kernelINS1_37wrapped_merge_sort_block_merge_configINS0_14default_configEtN2at4cuda3cub6detail10OpaqueTypeILi8EEEEEPtSC_PSA_SD_jNS1_19radix_merge_compareILb1ELb0EtNS0_19identity_decomposerEEEEEvT0_T1_T2_T3_T4_SL_T5_
	.p2align	8
	.type	_ZN7rocprim17ROCPRIM_304000_NS6detail33device_block_merge_oddeven_kernelINS1_37wrapped_merge_sort_block_merge_configINS0_14default_configEtN2at4cuda3cub6detail10OpaqueTypeILi8EEEEEPtSC_PSA_SD_jNS1_19radix_merge_compareILb1ELb0EtNS0_19identity_decomposerEEEEEvT0_T1_T2_T3_T4_SL_T5_,@function
_ZN7rocprim17ROCPRIM_304000_NS6detail33device_block_merge_oddeven_kernelINS1_37wrapped_merge_sort_block_merge_configINS0_14default_configEtN2at4cuda3cub6detail10OpaqueTypeILi8EEEEEPtSC_PSA_SD_jNS1_19radix_merge_compareILb1ELb0EtNS0_19identity_decomposerEEEEEvT0_T1_T2_T3_T4_SL_T5_: ; @_ZN7rocprim17ROCPRIM_304000_NS6detail33device_block_merge_oddeven_kernelINS1_37wrapped_merge_sort_block_merge_configINS0_14default_configEtN2at4cuda3cub6detail10OpaqueTypeILi8EEEEEPtSC_PSA_SD_jNS1_19radix_merge_compareILb1ELb0EtNS0_19identity_decomposerEEEEEvT0_T1_T2_T3_T4_SL_T5_
; %bb.0:
	s_load_dwordx2 s[18:19], s[4:5], 0x20
	s_waitcnt lgkmcnt(0)
	s_lshr_b32 s0, s18, 8
	s_cmp_eq_u32 s6, s0
	s_cselect_b64 s[16:17], -1, 0
	s_cmp_lg_u32 s6, s0
	s_cselect_b64 s[0:1], -1, 0
	s_lshl_b32 s20, s6, 8
	s_sub_i32 s2, s18, s20
	v_cmp_gt_u32_e64 s[2:3], s2, v0
	s_or_b64 s[0:1], s[0:1], s[2:3]
	s_and_saveexec_b64 s[8:9], s[0:1]
	s_cbranch_execz .LBB4_24
; %bb.1:
	s_load_dwordx8 s[8:15], s[4:5], 0x0
	s_mov_b32 s21, 0
	s_lshl_b64 s[0:1], s[20:21], 1
	v_lshlrev_b32_e32 v4, 3, v0
	v_lshlrev_b32_e32 v3, 1, v0
	s_waitcnt lgkmcnt(0)
	s_add_u32 s0, s8, s0
	s_addc_u32 s1, s9, s1
	s_lshl_b64 s[4:5], s[20:21], 3
	s_add_u32 s4, s12, s4
	s_addc_u32 s5, s13, s5
	global_load_dwordx2 v[1:2], v4, s[4:5]
	global_load_ushort v5, v3, s[0:1]
	s_lshr_b32 s0, s19, 8
	s_sub_i32 s1, 0, s0
	s_and_b32 s1, s6, s1
	s_and_b32 s0, s1, s0
	s_lshl_b32 s13, s1, 8
	s_sub_i32 s6, 0, s19
	s_cmp_eq_u32 s0, 0
	s_cselect_b64 s[0:1], -1, 0
	s_and_b64 s[4:5], s[0:1], exec
	s_cselect_b32 s6, s19, s6
	s_add_i32 s6, s6, s13
	s_mov_b64 s[4:5], -1
	s_cmp_gt_u32 s18, s6
	v_add_u32_e32 v3, s20, v0
	s_cbranch_scc1 .LBB4_9
; %bb.2:
	s_and_b64 vcc, exec, s[16:17]
	s_cbranch_vccz .LBB4_6
; %bb.3:
	v_cmp_gt_u32_e32 vcc, s18, v3
	s_and_saveexec_b64 s[4:5], vcc
	s_cbranch_execz .LBB4_5
; %bb.4:
	v_mov_b32_e32 v4, 0
	v_lshlrev_b64 v[6:7], 3, v[3:4]
	v_mov_b32_e32 v0, s15
	v_add_co_u32_e32 v6, vcc, s14, v6
	v_lshlrev_b64 v[8:9], 1, v[3:4]
	v_addc_co_u32_e32 v7, vcc, v0, v7, vcc
	v_mov_b32_e32 v0, s11
	v_add_co_u32_e32 v8, vcc, s10, v8
	v_addc_co_u32_e32 v9, vcc, v0, v9, vcc
	s_waitcnt vmcnt(0)
	global_store_short v[8:9], v5, off
	global_store_dwordx2 v[6:7], v[1:2], off
.LBB4_5:
	s_or_b64 exec, exec, s[4:5]
	s_mov_b64 s[4:5], 0
.LBB4_6:
	s_andn2_b64 vcc, exec, s[4:5]
	s_cbranch_vccnz .LBB4_8
; %bb.7:
	v_mov_b32_e32 v4, 0
	v_lshlrev_b64 v[6:7], 1, v[3:4]
	v_mov_b32_e32 v0, s11
	v_add_co_u32_e32 v6, vcc, s10, v6
	v_lshlrev_b64 v[8:9], 3, v[3:4]
	v_addc_co_u32_e32 v7, vcc, v0, v7, vcc
	v_mov_b32_e32 v0, s15
	v_add_co_u32_e32 v8, vcc, s14, v8
	v_addc_co_u32_e32 v9, vcc, v0, v9, vcc
	s_waitcnt vmcnt(0)
	global_store_short v[6:7], v5, off
	global_store_dwordx2 v[8:9], v[1:2], off
.LBB4_8:
	s_mov_b64 s[4:5], 0
.LBB4_9:
	s_andn2_b64 vcc, exec, s[4:5]
	s_cbranch_vccnz .LBB4_24
; %bb.10:
	s_min_u32 s7, s6, s18
	s_add_i32 s4, s7, s19
	s_min_u32 s12, s4, s18
	s_min_u32 s4, s13, s7
	s_add_i32 s13, s13, s7
	v_subrev_u32_e32 v0, s13, v3
	v_add_u32_e32 v0, s4, v0
	s_andn2_b64 vcc, exec, s[16:17]
	s_mov_b64 s[4:5], -1
	s_cbranch_vccnz .LBB4_18
; %bb.11:
	s_and_saveexec_b64 s[4:5], s[2:3]
	s_cbranch_execz .LBB4_17
; %bb.12:
	s_cmp_ge_u32 s6, s12
	v_mov_b32_e32 v3, s7
	s_cbranch_scc1 .LBB4_16
; %bb.13:
	s_mov_b64 s[2:3], 0
	v_mov_b32_e32 v4, s12
	v_mov_b32_e32 v3, s7
.LBB4_14:                               ; =>This Inner Loop Header: Depth=1
	v_add_u32_e32 v6, v3, v4
	v_and_b32_e32 v7, -2, v6
	global_load_ushort v7, v7, s[8:9]
	v_lshrrev_b32_e32 v6, 1, v6
	v_add_u32_e32 v8, 1, v6
	s_waitcnt vmcnt(0)
	v_cmp_gt_u16_e32 vcc, v7, v5
	v_cndmask_b32_e64 v9, 0, 1, vcc
	v_cmp_le_u16_e32 vcc, v5, v7
	v_cndmask_b32_e64 v7, 0, 1, vcc
	v_cndmask_b32_e64 v7, v7, v9, s[0:1]
	v_and_b32_e32 v7, 1, v7
	v_cmp_eq_u32_e32 vcc, 1, v7
	v_cndmask_b32_e32 v4, v6, v4, vcc
	v_cndmask_b32_e32 v3, v3, v8, vcc
	v_cmp_ge_u32_e32 vcc, v3, v4
	s_or_b64 s[2:3], vcc, s[2:3]
	s_andn2_b64 exec, exec, s[2:3]
	s_cbranch_execnz .LBB4_14
; %bb.15:
	s_or_b64 exec, exec, s[2:3]
.LBB4_16:
	v_add_u32_e32 v3, v3, v0
	v_mov_b32_e32 v4, 0
	v_lshlrev_b64 v[6:7], 1, v[3:4]
	v_mov_b32_e32 v8, s11
	v_add_co_u32_e32 v6, vcc, s10, v6
	v_lshlrev_b64 v[3:4], 3, v[3:4]
	v_addc_co_u32_e32 v7, vcc, v8, v7, vcc
	s_waitcnt vmcnt(0)
	global_store_short v[6:7], v5, off
	v_mov_b32_e32 v6, s15
	v_add_co_u32_e32 v3, vcc, s14, v3
	v_addc_co_u32_e32 v4, vcc, v6, v4, vcc
	global_store_dwordx2 v[3:4], v[1:2], off
.LBB4_17:
	s_or_b64 exec, exec, s[4:5]
	s_mov_b64 s[4:5], 0
.LBB4_18:
	s_andn2_b64 vcc, exec, s[4:5]
	s_cbranch_vccnz .LBB4_24
; %bb.19:
	s_cmp_ge_u32 s6, s12
	v_mov_b32_e32 v3, s7
	s_cbranch_scc1 .LBB4_23
; %bb.20:
	s_mov_b64 s[2:3], 0
	v_mov_b32_e32 v4, s12
	v_mov_b32_e32 v3, s7
.LBB4_21:                               ; =>This Inner Loop Header: Depth=1
	v_add_u32_e32 v6, v3, v4
	v_and_b32_e32 v7, -2, v6
	global_load_ushort v7, v7, s[8:9]
	v_lshrrev_b32_e32 v6, 1, v6
	v_add_u32_e32 v8, 1, v6
	s_waitcnt vmcnt(0)
	v_cmp_gt_u16_e32 vcc, v7, v5
	v_cndmask_b32_e64 v9, 0, 1, vcc
	v_cmp_le_u16_e32 vcc, v5, v7
	v_cndmask_b32_e64 v7, 0, 1, vcc
	v_cndmask_b32_e64 v7, v7, v9, s[0:1]
	v_and_b32_e32 v7, 1, v7
	v_cmp_eq_u32_e32 vcc, 1, v7
	v_cndmask_b32_e32 v4, v6, v4, vcc
	v_cndmask_b32_e32 v3, v3, v8, vcc
	v_cmp_ge_u32_e32 vcc, v3, v4
	s_or_b64 s[2:3], vcc, s[2:3]
	s_andn2_b64 exec, exec, s[2:3]
	s_cbranch_execnz .LBB4_21
; %bb.22:
	s_or_b64 exec, exec, s[2:3]
.LBB4_23:
	v_add_u32_e32 v3, v3, v0
	v_mov_b32_e32 v4, 0
	v_lshlrev_b64 v[6:7], 1, v[3:4]
	v_mov_b32_e32 v0, s11
	v_add_co_u32_e32 v6, vcc, s10, v6
	v_lshlrev_b64 v[3:4], 3, v[3:4]
	v_addc_co_u32_e32 v7, vcc, v0, v7, vcc
	v_mov_b32_e32 v0, s15
	v_add_co_u32_e32 v3, vcc, s14, v3
	v_addc_co_u32_e32 v4, vcc, v0, v4, vcc
	s_waitcnt vmcnt(0)
	global_store_short v[6:7], v5, off
	global_store_dwordx2 v[3:4], v[1:2], off
.LBB4_24:
	s_endpgm
	.section	.rodata,"a",@progbits
	.p2align	6, 0x0
	.amdhsa_kernel _ZN7rocprim17ROCPRIM_304000_NS6detail33device_block_merge_oddeven_kernelINS1_37wrapped_merge_sort_block_merge_configINS0_14default_configEtN2at4cuda3cub6detail10OpaqueTypeILi8EEEEEPtSC_PSA_SD_jNS1_19radix_merge_compareILb1ELb0EtNS0_19identity_decomposerEEEEEvT0_T1_T2_T3_T4_SL_T5_
		.amdhsa_group_segment_fixed_size 0
		.amdhsa_private_segment_fixed_size 0
		.amdhsa_kernarg_size 44
		.amdhsa_user_sgpr_count 6
		.amdhsa_user_sgpr_private_segment_buffer 1
		.amdhsa_user_sgpr_dispatch_ptr 0
		.amdhsa_user_sgpr_queue_ptr 0
		.amdhsa_user_sgpr_kernarg_segment_ptr 1
		.amdhsa_user_sgpr_dispatch_id 0
		.amdhsa_user_sgpr_flat_scratch_init 0
		.amdhsa_user_sgpr_private_segment_size 0
		.amdhsa_uses_dynamic_stack 0
		.amdhsa_system_sgpr_private_segment_wavefront_offset 0
		.amdhsa_system_sgpr_workgroup_id_x 1
		.amdhsa_system_sgpr_workgroup_id_y 0
		.amdhsa_system_sgpr_workgroup_id_z 0
		.amdhsa_system_sgpr_workgroup_info 0
		.amdhsa_system_vgpr_workitem_id 0
		.amdhsa_next_free_vgpr 10
		.amdhsa_next_free_sgpr 22
		.amdhsa_reserve_vcc 1
		.amdhsa_reserve_flat_scratch 0
		.amdhsa_float_round_mode_32 0
		.amdhsa_float_round_mode_16_64 0
		.amdhsa_float_denorm_mode_32 3
		.amdhsa_float_denorm_mode_16_64 3
		.amdhsa_dx10_clamp 1
		.amdhsa_ieee_mode 1
		.amdhsa_fp16_overflow 0
		.amdhsa_exception_fp_ieee_invalid_op 0
		.amdhsa_exception_fp_denorm_src 0
		.amdhsa_exception_fp_ieee_div_zero 0
		.amdhsa_exception_fp_ieee_overflow 0
		.amdhsa_exception_fp_ieee_underflow 0
		.amdhsa_exception_fp_ieee_inexact 0
		.amdhsa_exception_int_div_zero 0
	.end_amdhsa_kernel
	.section	.text._ZN7rocprim17ROCPRIM_304000_NS6detail33device_block_merge_oddeven_kernelINS1_37wrapped_merge_sort_block_merge_configINS0_14default_configEtN2at4cuda3cub6detail10OpaqueTypeILi8EEEEEPtSC_PSA_SD_jNS1_19radix_merge_compareILb1ELb0EtNS0_19identity_decomposerEEEEEvT0_T1_T2_T3_T4_SL_T5_,"axG",@progbits,_ZN7rocprim17ROCPRIM_304000_NS6detail33device_block_merge_oddeven_kernelINS1_37wrapped_merge_sort_block_merge_configINS0_14default_configEtN2at4cuda3cub6detail10OpaqueTypeILi8EEEEEPtSC_PSA_SD_jNS1_19radix_merge_compareILb1ELb0EtNS0_19identity_decomposerEEEEEvT0_T1_T2_T3_T4_SL_T5_,comdat
.Lfunc_end4:
	.size	_ZN7rocprim17ROCPRIM_304000_NS6detail33device_block_merge_oddeven_kernelINS1_37wrapped_merge_sort_block_merge_configINS0_14default_configEtN2at4cuda3cub6detail10OpaqueTypeILi8EEEEEPtSC_PSA_SD_jNS1_19radix_merge_compareILb1ELb0EtNS0_19identity_decomposerEEEEEvT0_T1_T2_T3_T4_SL_T5_, .Lfunc_end4-_ZN7rocprim17ROCPRIM_304000_NS6detail33device_block_merge_oddeven_kernelINS1_37wrapped_merge_sort_block_merge_configINS0_14default_configEtN2at4cuda3cub6detail10OpaqueTypeILi8EEEEEPtSC_PSA_SD_jNS1_19radix_merge_compareILb1ELb0EtNS0_19identity_decomposerEEEEEvT0_T1_T2_T3_T4_SL_T5_
                                        ; -- End function
	.set _ZN7rocprim17ROCPRIM_304000_NS6detail33device_block_merge_oddeven_kernelINS1_37wrapped_merge_sort_block_merge_configINS0_14default_configEtN2at4cuda3cub6detail10OpaqueTypeILi8EEEEEPtSC_PSA_SD_jNS1_19radix_merge_compareILb1ELb0EtNS0_19identity_decomposerEEEEEvT0_T1_T2_T3_T4_SL_T5_.num_vgpr, 10
	.set _ZN7rocprim17ROCPRIM_304000_NS6detail33device_block_merge_oddeven_kernelINS1_37wrapped_merge_sort_block_merge_configINS0_14default_configEtN2at4cuda3cub6detail10OpaqueTypeILi8EEEEEPtSC_PSA_SD_jNS1_19radix_merge_compareILb1ELb0EtNS0_19identity_decomposerEEEEEvT0_T1_T2_T3_T4_SL_T5_.num_agpr, 0
	.set _ZN7rocprim17ROCPRIM_304000_NS6detail33device_block_merge_oddeven_kernelINS1_37wrapped_merge_sort_block_merge_configINS0_14default_configEtN2at4cuda3cub6detail10OpaqueTypeILi8EEEEEPtSC_PSA_SD_jNS1_19radix_merge_compareILb1ELb0EtNS0_19identity_decomposerEEEEEvT0_T1_T2_T3_T4_SL_T5_.numbered_sgpr, 22
	.set _ZN7rocprim17ROCPRIM_304000_NS6detail33device_block_merge_oddeven_kernelINS1_37wrapped_merge_sort_block_merge_configINS0_14default_configEtN2at4cuda3cub6detail10OpaqueTypeILi8EEEEEPtSC_PSA_SD_jNS1_19radix_merge_compareILb1ELb0EtNS0_19identity_decomposerEEEEEvT0_T1_T2_T3_T4_SL_T5_.num_named_barrier, 0
	.set _ZN7rocprim17ROCPRIM_304000_NS6detail33device_block_merge_oddeven_kernelINS1_37wrapped_merge_sort_block_merge_configINS0_14default_configEtN2at4cuda3cub6detail10OpaqueTypeILi8EEEEEPtSC_PSA_SD_jNS1_19radix_merge_compareILb1ELb0EtNS0_19identity_decomposerEEEEEvT0_T1_T2_T3_T4_SL_T5_.private_seg_size, 0
	.set _ZN7rocprim17ROCPRIM_304000_NS6detail33device_block_merge_oddeven_kernelINS1_37wrapped_merge_sort_block_merge_configINS0_14default_configEtN2at4cuda3cub6detail10OpaqueTypeILi8EEEEEPtSC_PSA_SD_jNS1_19radix_merge_compareILb1ELb0EtNS0_19identity_decomposerEEEEEvT0_T1_T2_T3_T4_SL_T5_.uses_vcc, 1
	.set _ZN7rocprim17ROCPRIM_304000_NS6detail33device_block_merge_oddeven_kernelINS1_37wrapped_merge_sort_block_merge_configINS0_14default_configEtN2at4cuda3cub6detail10OpaqueTypeILi8EEEEEPtSC_PSA_SD_jNS1_19radix_merge_compareILb1ELb0EtNS0_19identity_decomposerEEEEEvT0_T1_T2_T3_T4_SL_T5_.uses_flat_scratch, 0
	.set _ZN7rocprim17ROCPRIM_304000_NS6detail33device_block_merge_oddeven_kernelINS1_37wrapped_merge_sort_block_merge_configINS0_14default_configEtN2at4cuda3cub6detail10OpaqueTypeILi8EEEEEPtSC_PSA_SD_jNS1_19radix_merge_compareILb1ELb0EtNS0_19identity_decomposerEEEEEvT0_T1_T2_T3_T4_SL_T5_.has_dyn_sized_stack, 0
	.set _ZN7rocprim17ROCPRIM_304000_NS6detail33device_block_merge_oddeven_kernelINS1_37wrapped_merge_sort_block_merge_configINS0_14default_configEtN2at4cuda3cub6detail10OpaqueTypeILi8EEEEEPtSC_PSA_SD_jNS1_19radix_merge_compareILb1ELb0EtNS0_19identity_decomposerEEEEEvT0_T1_T2_T3_T4_SL_T5_.has_recursion, 0
	.set _ZN7rocprim17ROCPRIM_304000_NS6detail33device_block_merge_oddeven_kernelINS1_37wrapped_merge_sort_block_merge_configINS0_14default_configEtN2at4cuda3cub6detail10OpaqueTypeILi8EEEEEPtSC_PSA_SD_jNS1_19radix_merge_compareILb1ELb0EtNS0_19identity_decomposerEEEEEvT0_T1_T2_T3_T4_SL_T5_.has_indirect_call, 0
	.section	.AMDGPU.csdata,"",@progbits
; Kernel info:
; codeLenInByte = 804
; TotalNumSgprs: 26
; NumVgprs: 10
; ScratchSize: 0
; MemoryBound: 0
; FloatMode: 240
; IeeeMode: 1
; LDSByteSize: 0 bytes/workgroup (compile time only)
; SGPRBlocks: 3
; VGPRBlocks: 2
; NumSGPRsForWavesPerEU: 26
; NumVGPRsForWavesPerEU: 10
; Occupancy: 10
; WaveLimiterHint : 0
; COMPUTE_PGM_RSRC2:SCRATCH_EN: 0
; COMPUTE_PGM_RSRC2:USER_SGPR: 6
; COMPUTE_PGM_RSRC2:TRAP_HANDLER: 0
; COMPUTE_PGM_RSRC2:TGID_X_EN: 1
; COMPUTE_PGM_RSRC2:TGID_Y_EN: 0
; COMPUTE_PGM_RSRC2:TGID_Z_EN: 0
; COMPUTE_PGM_RSRC2:TIDIG_COMP_CNT: 0
	.section	.text._ZN7rocprim17ROCPRIM_304000_NS6detail16transform_kernelINS1_24wrapped_transform_configINS0_14default_configEtEEtPtS6_NS0_8identityItEEEEvT1_mT2_T3_,"axG",@progbits,_ZN7rocprim17ROCPRIM_304000_NS6detail16transform_kernelINS1_24wrapped_transform_configINS0_14default_configEtEEtPtS6_NS0_8identityItEEEEvT1_mT2_T3_,comdat
	.protected	_ZN7rocprim17ROCPRIM_304000_NS6detail16transform_kernelINS1_24wrapped_transform_configINS0_14default_configEtEEtPtS6_NS0_8identityItEEEEvT1_mT2_T3_ ; -- Begin function _ZN7rocprim17ROCPRIM_304000_NS6detail16transform_kernelINS1_24wrapped_transform_configINS0_14default_configEtEEtPtS6_NS0_8identityItEEEEvT1_mT2_T3_
	.globl	_ZN7rocprim17ROCPRIM_304000_NS6detail16transform_kernelINS1_24wrapped_transform_configINS0_14default_configEtEEtPtS6_NS0_8identityItEEEEvT1_mT2_T3_
	.p2align	8
	.type	_ZN7rocprim17ROCPRIM_304000_NS6detail16transform_kernelINS1_24wrapped_transform_configINS0_14default_configEtEEtPtS6_NS0_8identityItEEEEvT1_mT2_T3_,@function
_ZN7rocprim17ROCPRIM_304000_NS6detail16transform_kernelINS1_24wrapped_transform_configINS0_14default_configEtEEtPtS6_NS0_8identityItEEEEvT1_mT2_T3_: ; @_ZN7rocprim17ROCPRIM_304000_NS6detail16transform_kernelINS1_24wrapped_transform_configINS0_14default_configEtEEtPtS6_NS0_8identityItEEEEvT1_mT2_T3_
; %bb.0:
	s_load_dword s7, s[4:5], 0x20
	s_load_dwordx4 s[0:3], s[4:5], 0x0
	s_load_dwordx2 s[8:9], s[4:5], 0x10
	s_lshl_b32 s4, s6, 11
	s_mov_b32 s5, 0
	s_waitcnt lgkmcnt(0)
	s_add_i32 s7, s7, -1
	s_lshl_b64 s[10:11], s[4:5], 1
	s_add_u32 s0, s0, s10
	s_addc_u32 s1, s1, s11
	v_lshlrev_b32_e32 v5, 1, v0
	v_mov_b32_e32 v1, s1
	v_add_co_u32_e32 v3, vcc, s0, v5
	s_cmp_lg_u32 s6, s7
	v_addc_co_u32_e32 v4, vcc, 0, v1, vcc
	s_cbranch_scc0 .LBB5_2
; %bb.1:
	global_load_ushort v2, v[3:4], off
	global_load_ushort v6, v[3:4], off offset:1024
	global_load_ushort v7, v[3:4], off offset:2048
	;; [unrolled: 1-line block ×3, first 2 shown]
	s_add_u32 s6, s8, s10
	s_addc_u32 s7, s9, s11
	s_mov_b64 s[12:13], -1
	s_waitcnt vmcnt(3)
	global_store_short v5, v2, s[6:7]
	s_waitcnt vmcnt(3)
	global_store_short v5, v6, s[6:7] offset:1024
	s_waitcnt vmcnt(3)
	global_store_short v5, v7, s[6:7] offset:2048
	s_cbranch_execz .LBB5_3
	s_branch .LBB5_17
.LBB5_2:
	s_mov_b64 s[12:13], 0
                                        ; implicit-def: $vgpr1
.LBB5_3:
	s_sub_i32 s6, s2, s4
	s_waitcnt vmcnt(3)
	v_mov_b32_e32 v1, 0
	v_cmp_gt_u32_e32 vcc, s6, v0
	v_mov_b32_e32 v2, v1
	s_and_saveexec_b64 s[0:1], vcc
	s_cbranch_execz .LBB5_5
; %bb.4:
	global_load_ushort v2, v[3:4], off
	v_mov_b32_e32 v7, v1
	s_waitcnt vmcnt(0)
	v_and_b32_e32 v6, 0xffff, v2
	v_mov_b32_e32 v1, v6
	v_mov_b32_e32 v2, v7
.LBB5_5:
	s_or_b64 exec, exec, s[0:1]
	v_or_b32_e32 v6, 0x200, v0
	v_cmp_gt_u32_e64 s[0:1], s6, v6
	s_and_saveexec_b64 s[2:3], s[0:1]
	s_cbranch_execz .LBB5_7
; %bb.6:
	global_load_ushort v6, v[3:4], off offset:1024
	s_mov_b32 s4, 0x5040100
	s_waitcnt vmcnt(0)
	v_perm_b32 v1, v6, v1, s4
.LBB5_7:
	s_or_b64 exec, exec, s[2:3]
	v_or_b32_e32 v6, 0x400, v0
	v_cmp_gt_u32_e64 s[2:3], s6, v6
	s_and_saveexec_b64 s[4:5], s[2:3]
	s_cbranch_execz .LBB5_9
; %bb.8:
	global_load_ushort v6, v[3:4], off offset:2048
	s_mov_b32 s7, 0xffff
	s_waitcnt vmcnt(0)
	v_bfi_b32 v2, s7, v6, v2
.LBB5_9:
	s_or_b64 exec, exec, s[4:5]
	v_or_b32_e32 v0, 0x600, v0
	v_cmp_gt_u32_e64 s[4:5], s6, v0
	s_and_saveexec_b64 s[6:7], s[4:5]
	s_cbranch_execz .LBB5_11
; %bb.10:
	global_load_ushort v0, v[3:4], off offset:3072
	s_mov_b32 s14, 0x5040100
	s_waitcnt vmcnt(0)
	v_perm_b32 v2, v0, v2, s14
.LBB5_11:
	s_or_b64 exec, exec, s[6:7]
	s_add_u32 s6, s8, s10
	s_addc_u32 s7, s9, s11
	v_mov_b32_e32 v0, 0
	v_mov_b32_e32 v4, s7
	v_add_co_u32_e64 v3, s[6:7], s6, v5
	v_cndmask_b32_sdwa v0, v0, v1, vcc dst_sel:DWORD dst_unused:UNUSED_PAD src0_sel:DWORD src1_sel:WORD_0
	v_addc_co_u32_e64 v4, s[6:7], 0, v4, s[6:7]
	s_and_saveexec_b64 s[6:7], vcc
	s_cbranch_execnz .LBB5_20
; %bb.12:
	s_or_b64 exec, exec, s[6:7]
	v_cndmask_b32_e64 v0, v0, v1, s[0:1]
	s_and_saveexec_b64 s[6:7], s[0:1]
	s_cbranch_execnz .LBB5_21
.LBB5_13:
	s_or_b64 exec, exec, s[6:7]
	s_and_saveexec_b64 s[0:1], s[2:3]
	s_cbranch_execnz .LBB5_22
.LBB5_14:
	s_or_b64 exec, exec, s[0:1]
                                        ; implicit-def: $vgpr1
	s_and_saveexec_b64 s[0:1], s[4:5]
.LBB5_15:
	v_cndmask_b32_e64 v0, 0, v2, s[4:5]
	v_lshrrev_b32_e32 v1, 16, v0
	s_or_b64 s[12:13], s[12:13], exec
.LBB5_16:
	s_or_b64 exec, exec, s[0:1]
.LBB5_17:
	s_and_saveexec_b64 s[0:1], s[12:13]
	s_cbranch_execnz .LBB5_19
; %bb.18:
	s_endpgm
.LBB5_19:
	s_add_u32 s0, s8, s10
	s_addc_u32 s1, s9, s11
	s_waitcnt vmcnt(3)
	global_store_short v5, v1, s[0:1] offset:3072
	s_endpgm
.LBB5_20:
	global_store_short v[3:4], v0, off
	s_or_b64 exec, exec, s[6:7]
	v_cndmask_b32_e64 v0, v0, v1, s[0:1]
	s_and_saveexec_b64 s[6:7], s[0:1]
	s_cbranch_execz .LBB5_13
.LBB5_21:
	global_store_short_d16_hi v[3:4], v0, off offset:1024
	s_or_b64 exec, exec, s[6:7]
	s_and_saveexec_b64 s[0:1], s[2:3]
	s_cbranch_execz .LBB5_14
.LBB5_22:
	v_cndmask_b32_e64 v0, 0, v2, s[2:3]
	global_store_short v[3:4], v0, off offset:2048
	s_or_b64 exec, exec, s[0:1]
                                        ; implicit-def: $vgpr1
	s_and_saveexec_b64 s[0:1], s[4:5]
	s_cbranch_execnz .LBB5_15
	s_branch .LBB5_16
	.section	.rodata,"a",@progbits
	.p2align	6, 0x0
	.amdhsa_kernel _ZN7rocprim17ROCPRIM_304000_NS6detail16transform_kernelINS1_24wrapped_transform_configINS0_14default_configEtEEtPtS6_NS0_8identityItEEEEvT1_mT2_T3_
		.amdhsa_group_segment_fixed_size 0
		.amdhsa_private_segment_fixed_size 0
		.amdhsa_kernarg_size 288
		.amdhsa_user_sgpr_count 6
		.amdhsa_user_sgpr_private_segment_buffer 1
		.amdhsa_user_sgpr_dispatch_ptr 0
		.amdhsa_user_sgpr_queue_ptr 0
		.amdhsa_user_sgpr_kernarg_segment_ptr 1
		.amdhsa_user_sgpr_dispatch_id 0
		.amdhsa_user_sgpr_flat_scratch_init 0
		.amdhsa_user_sgpr_private_segment_size 0
		.amdhsa_uses_dynamic_stack 0
		.amdhsa_system_sgpr_private_segment_wavefront_offset 0
		.amdhsa_system_sgpr_workgroup_id_x 1
		.amdhsa_system_sgpr_workgroup_id_y 0
		.amdhsa_system_sgpr_workgroup_id_z 0
		.amdhsa_system_sgpr_workgroup_info 0
		.amdhsa_system_vgpr_workitem_id 0
		.amdhsa_next_free_vgpr 8
		.amdhsa_next_free_sgpr 15
		.amdhsa_reserve_vcc 1
		.amdhsa_reserve_flat_scratch 0
		.amdhsa_float_round_mode_32 0
		.amdhsa_float_round_mode_16_64 0
		.amdhsa_float_denorm_mode_32 3
		.amdhsa_float_denorm_mode_16_64 3
		.amdhsa_dx10_clamp 1
		.amdhsa_ieee_mode 1
		.amdhsa_fp16_overflow 0
		.amdhsa_exception_fp_ieee_invalid_op 0
		.amdhsa_exception_fp_denorm_src 0
		.amdhsa_exception_fp_ieee_div_zero 0
		.amdhsa_exception_fp_ieee_overflow 0
		.amdhsa_exception_fp_ieee_underflow 0
		.amdhsa_exception_fp_ieee_inexact 0
		.amdhsa_exception_int_div_zero 0
	.end_amdhsa_kernel
	.section	.text._ZN7rocprim17ROCPRIM_304000_NS6detail16transform_kernelINS1_24wrapped_transform_configINS0_14default_configEtEEtPtS6_NS0_8identityItEEEEvT1_mT2_T3_,"axG",@progbits,_ZN7rocprim17ROCPRIM_304000_NS6detail16transform_kernelINS1_24wrapped_transform_configINS0_14default_configEtEEtPtS6_NS0_8identityItEEEEvT1_mT2_T3_,comdat
.Lfunc_end5:
	.size	_ZN7rocprim17ROCPRIM_304000_NS6detail16transform_kernelINS1_24wrapped_transform_configINS0_14default_configEtEEtPtS6_NS0_8identityItEEEEvT1_mT2_T3_, .Lfunc_end5-_ZN7rocprim17ROCPRIM_304000_NS6detail16transform_kernelINS1_24wrapped_transform_configINS0_14default_configEtEEtPtS6_NS0_8identityItEEEEvT1_mT2_T3_
                                        ; -- End function
	.set _ZN7rocprim17ROCPRIM_304000_NS6detail16transform_kernelINS1_24wrapped_transform_configINS0_14default_configEtEEtPtS6_NS0_8identityItEEEEvT1_mT2_T3_.num_vgpr, 8
	.set _ZN7rocprim17ROCPRIM_304000_NS6detail16transform_kernelINS1_24wrapped_transform_configINS0_14default_configEtEEtPtS6_NS0_8identityItEEEEvT1_mT2_T3_.num_agpr, 0
	.set _ZN7rocprim17ROCPRIM_304000_NS6detail16transform_kernelINS1_24wrapped_transform_configINS0_14default_configEtEEtPtS6_NS0_8identityItEEEEvT1_mT2_T3_.numbered_sgpr, 15
	.set _ZN7rocprim17ROCPRIM_304000_NS6detail16transform_kernelINS1_24wrapped_transform_configINS0_14default_configEtEEtPtS6_NS0_8identityItEEEEvT1_mT2_T3_.num_named_barrier, 0
	.set _ZN7rocprim17ROCPRIM_304000_NS6detail16transform_kernelINS1_24wrapped_transform_configINS0_14default_configEtEEtPtS6_NS0_8identityItEEEEvT1_mT2_T3_.private_seg_size, 0
	.set _ZN7rocprim17ROCPRIM_304000_NS6detail16transform_kernelINS1_24wrapped_transform_configINS0_14default_configEtEEtPtS6_NS0_8identityItEEEEvT1_mT2_T3_.uses_vcc, 1
	.set _ZN7rocprim17ROCPRIM_304000_NS6detail16transform_kernelINS1_24wrapped_transform_configINS0_14default_configEtEEtPtS6_NS0_8identityItEEEEvT1_mT2_T3_.uses_flat_scratch, 0
	.set _ZN7rocprim17ROCPRIM_304000_NS6detail16transform_kernelINS1_24wrapped_transform_configINS0_14default_configEtEEtPtS6_NS0_8identityItEEEEvT1_mT2_T3_.has_dyn_sized_stack, 0
	.set _ZN7rocprim17ROCPRIM_304000_NS6detail16transform_kernelINS1_24wrapped_transform_configINS0_14default_configEtEEtPtS6_NS0_8identityItEEEEvT1_mT2_T3_.has_recursion, 0
	.set _ZN7rocprim17ROCPRIM_304000_NS6detail16transform_kernelINS1_24wrapped_transform_configINS0_14default_configEtEEtPtS6_NS0_8identityItEEEEvT1_mT2_T3_.has_indirect_call, 0
	.section	.AMDGPU.csdata,"",@progbits
; Kernel info:
; codeLenInByte = 624
; TotalNumSgprs: 19
; NumVgprs: 8
; ScratchSize: 0
; MemoryBound: 0
; FloatMode: 240
; IeeeMode: 1
; LDSByteSize: 0 bytes/workgroup (compile time only)
; SGPRBlocks: 2
; VGPRBlocks: 1
; NumSGPRsForWavesPerEU: 19
; NumVGPRsForWavesPerEU: 8
; Occupancy: 10
; WaveLimiterHint : 1
; COMPUTE_PGM_RSRC2:SCRATCH_EN: 0
; COMPUTE_PGM_RSRC2:USER_SGPR: 6
; COMPUTE_PGM_RSRC2:TRAP_HANDLER: 0
; COMPUTE_PGM_RSRC2:TGID_X_EN: 1
; COMPUTE_PGM_RSRC2:TGID_Y_EN: 0
; COMPUTE_PGM_RSRC2:TGID_Z_EN: 0
; COMPUTE_PGM_RSRC2:TIDIG_COMP_CNT: 0
	.section	.text._ZN7rocprim17ROCPRIM_304000_NS6detail16transform_kernelINS1_24wrapped_transform_configINS0_14default_configEN2at4cuda3cub6detail10OpaqueTypeILi8EEEEESA_PSA_SC_NS0_8identityISA_EEEEvT1_mT2_T3_,"axG",@progbits,_ZN7rocprim17ROCPRIM_304000_NS6detail16transform_kernelINS1_24wrapped_transform_configINS0_14default_configEN2at4cuda3cub6detail10OpaqueTypeILi8EEEEESA_PSA_SC_NS0_8identityISA_EEEEvT1_mT2_T3_,comdat
	.protected	_ZN7rocprim17ROCPRIM_304000_NS6detail16transform_kernelINS1_24wrapped_transform_configINS0_14default_configEN2at4cuda3cub6detail10OpaqueTypeILi8EEEEESA_PSA_SC_NS0_8identityISA_EEEEvT1_mT2_T3_ ; -- Begin function _ZN7rocprim17ROCPRIM_304000_NS6detail16transform_kernelINS1_24wrapped_transform_configINS0_14default_configEN2at4cuda3cub6detail10OpaqueTypeILi8EEEEESA_PSA_SC_NS0_8identityISA_EEEEvT1_mT2_T3_
	.globl	_ZN7rocprim17ROCPRIM_304000_NS6detail16transform_kernelINS1_24wrapped_transform_configINS0_14default_configEN2at4cuda3cub6detail10OpaqueTypeILi8EEEEESA_PSA_SC_NS0_8identityISA_EEEEvT1_mT2_T3_
	.p2align	8
	.type	_ZN7rocprim17ROCPRIM_304000_NS6detail16transform_kernelINS1_24wrapped_transform_configINS0_14default_configEN2at4cuda3cub6detail10OpaqueTypeILi8EEEEESA_PSA_SC_NS0_8identityISA_EEEEvT1_mT2_T3_,@function
_ZN7rocprim17ROCPRIM_304000_NS6detail16transform_kernelINS1_24wrapped_transform_configINS0_14default_configEN2at4cuda3cub6detail10OpaqueTypeILi8EEEEESA_PSA_SC_NS0_8identityISA_EEEEvT1_mT2_T3_: ; @_ZN7rocprim17ROCPRIM_304000_NS6detail16transform_kernelINS1_24wrapped_transform_configINS0_14default_configEN2at4cuda3cub6detail10OpaqueTypeILi8EEEEESA_PSA_SC_NS0_8identityISA_EEEEvT1_mT2_T3_
; %bb.0:
	s_load_dword s7, s[4:5], 0x20
	s_load_dwordx4 s[0:3], s[4:5], 0x0
	s_lshl_b32 s8, s6, 9
	s_waitcnt lgkmcnt(0)
	s_add_i32 s7, s7, -1
	s_cmp_lg_u32 s6, s7
	s_cselect_b64 s[6:7], -1, 0
	s_sub_i32 s2, s2, s8
	v_cmp_gt_u32_e32 vcc, s2, v0
	s_or_b64 s[2:3], vcc, s[6:7]
	s_and_saveexec_b64 s[6:7], s[2:3]
	s_cbranch_execz .LBB6_2
; %bb.1:
	s_load_dwordx2 s[2:3], s[4:5], 0x10
	s_mov_b32 s9, 0
	s_lshl_b64 s[4:5], s[8:9], 3
	v_lshlrev_b32_e32 v2, 3, v0
	s_waitcnt lgkmcnt(0)
	s_add_u32 s2, s2, s4
	s_addc_u32 s3, s3, s5
	s_add_u32 s0, s0, s4
	s_addc_u32 s1, s1, s5
	global_load_dwordx2 v[0:1], v2, s[0:1]
	s_waitcnt vmcnt(0)
	global_store_dwordx2 v2, v[0:1], s[2:3]
.LBB6_2:
	s_endpgm
	.section	.rodata,"a",@progbits
	.p2align	6, 0x0
	.amdhsa_kernel _ZN7rocprim17ROCPRIM_304000_NS6detail16transform_kernelINS1_24wrapped_transform_configINS0_14default_configEN2at4cuda3cub6detail10OpaqueTypeILi8EEEEESA_PSA_SC_NS0_8identityISA_EEEEvT1_mT2_T3_
		.amdhsa_group_segment_fixed_size 0
		.amdhsa_private_segment_fixed_size 0
		.amdhsa_kernarg_size 288
		.amdhsa_user_sgpr_count 6
		.amdhsa_user_sgpr_private_segment_buffer 1
		.amdhsa_user_sgpr_dispatch_ptr 0
		.amdhsa_user_sgpr_queue_ptr 0
		.amdhsa_user_sgpr_kernarg_segment_ptr 1
		.amdhsa_user_sgpr_dispatch_id 0
		.amdhsa_user_sgpr_flat_scratch_init 0
		.amdhsa_user_sgpr_private_segment_size 0
		.amdhsa_uses_dynamic_stack 0
		.amdhsa_system_sgpr_private_segment_wavefront_offset 0
		.amdhsa_system_sgpr_workgroup_id_x 1
		.amdhsa_system_sgpr_workgroup_id_y 0
		.amdhsa_system_sgpr_workgroup_id_z 0
		.amdhsa_system_sgpr_workgroup_info 0
		.amdhsa_system_vgpr_workitem_id 0
		.amdhsa_next_free_vgpr 3
		.amdhsa_next_free_sgpr 10
		.amdhsa_reserve_vcc 1
		.amdhsa_reserve_flat_scratch 0
		.amdhsa_float_round_mode_32 0
		.amdhsa_float_round_mode_16_64 0
		.amdhsa_float_denorm_mode_32 3
		.amdhsa_float_denorm_mode_16_64 3
		.amdhsa_dx10_clamp 1
		.amdhsa_ieee_mode 1
		.amdhsa_fp16_overflow 0
		.amdhsa_exception_fp_ieee_invalid_op 0
		.amdhsa_exception_fp_denorm_src 0
		.amdhsa_exception_fp_ieee_div_zero 0
		.amdhsa_exception_fp_ieee_overflow 0
		.amdhsa_exception_fp_ieee_underflow 0
		.amdhsa_exception_fp_ieee_inexact 0
		.amdhsa_exception_int_div_zero 0
	.end_amdhsa_kernel
	.section	.text._ZN7rocprim17ROCPRIM_304000_NS6detail16transform_kernelINS1_24wrapped_transform_configINS0_14default_configEN2at4cuda3cub6detail10OpaqueTypeILi8EEEEESA_PSA_SC_NS0_8identityISA_EEEEvT1_mT2_T3_,"axG",@progbits,_ZN7rocprim17ROCPRIM_304000_NS6detail16transform_kernelINS1_24wrapped_transform_configINS0_14default_configEN2at4cuda3cub6detail10OpaqueTypeILi8EEEEESA_PSA_SC_NS0_8identityISA_EEEEvT1_mT2_T3_,comdat
.Lfunc_end6:
	.size	_ZN7rocprim17ROCPRIM_304000_NS6detail16transform_kernelINS1_24wrapped_transform_configINS0_14default_configEN2at4cuda3cub6detail10OpaqueTypeILi8EEEEESA_PSA_SC_NS0_8identityISA_EEEEvT1_mT2_T3_, .Lfunc_end6-_ZN7rocprim17ROCPRIM_304000_NS6detail16transform_kernelINS1_24wrapped_transform_configINS0_14default_configEN2at4cuda3cub6detail10OpaqueTypeILi8EEEEESA_PSA_SC_NS0_8identityISA_EEEEvT1_mT2_T3_
                                        ; -- End function
	.set _ZN7rocprim17ROCPRIM_304000_NS6detail16transform_kernelINS1_24wrapped_transform_configINS0_14default_configEN2at4cuda3cub6detail10OpaqueTypeILi8EEEEESA_PSA_SC_NS0_8identityISA_EEEEvT1_mT2_T3_.num_vgpr, 3
	.set _ZN7rocprim17ROCPRIM_304000_NS6detail16transform_kernelINS1_24wrapped_transform_configINS0_14default_configEN2at4cuda3cub6detail10OpaqueTypeILi8EEEEESA_PSA_SC_NS0_8identityISA_EEEEvT1_mT2_T3_.num_agpr, 0
	.set _ZN7rocprim17ROCPRIM_304000_NS6detail16transform_kernelINS1_24wrapped_transform_configINS0_14default_configEN2at4cuda3cub6detail10OpaqueTypeILi8EEEEESA_PSA_SC_NS0_8identityISA_EEEEvT1_mT2_T3_.numbered_sgpr, 10
	.set _ZN7rocprim17ROCPRIM_304000_NS6detail16transform_kernelINS1_24wrapped_transform_configINS0_14default_configEN2at4cuda3cub6detail10OpaqueTypeILi8EEEEESA_PSA_SC_NS0_8identityISA_EEEEvT1_mT2_T3_.num_named_barrier, 0
	.set _ZN7rocprim17ROCPRIM_304000_NS6detail16transform_kernelINS1_24wrapped_transform_configINS0_14default_configEN2at4cuda3cub6detail10OpaqueTypeILi8EEEEESA_PSA_SC_NS0_8identityISA_EEEEvT1_mT2_T3_.private_seg_size, 0
	.set _ZN7rocprim17ROCPRIM_304000_NS6detail16transform_kernelINS1_24wrapped_transform_configINS0_14default_configEN2at4cuda3cub6detail10OpaqueTypeILi8EEEEESA_PSA_SC_NS0_8identityISA_EEEEvT1_mT2_T3_.uses_vcc, 1
	.set _ZN7rocprim17ROCPRIM_304000_NS6detail16transform_kernelINS1_24wrapped_transform_configINS0_14default_configEN2at4cuda3cub6detail10OpaqueTypeILi8EEEEESA_PSA_SC_NS0_8identityISA_EEEEvT1_mT2_T3_.uses_flat_scratch, 0
	.set _ZN7rocprim17ROCPRIM_304000_NS6detail16transform_kernelINS1_24wrapped_transform_configINS0_14default_configEN2at4cuda3cub6detail10OpaqueTypeILi8EEEEESA_PSA_SC_NS0_8identityISA_EEEEvT1_mT2_T3_.has_dyn_sized_stack, 0
	.set _ZN7rocprim17ROCPRIM_304000_NS6detail16transform_kernelINS1_24wrapped_transform_configINS0_14default_configEN2at4cuda3cub6detail10OpaqueTypeILi8EEEEESA_PSA_SC_NS0_8identityISA_EEEEvT1_mT2_T3_.has_recursion, 0
	.set _ZN7rocprim17ROCPRIM_304000_NS6detail16transform_kernelINS1_24wrapped_transform_configINS0_14default_configEN2at4cuda3cub6detail10OpaqueTypeILi8EEEEESA_PSA_SC_NS0_8identityISA_EEEEvT1_mT2_T3_.has_indirect_call, 0
	.section	.AMDGPU.csdata,"",@progbits
; Kernel info:
; codeLenInByte = 120
; TotalNumSgprs: 14
; NumVgprs: 3
; ScratchSize: 0
; MemoryBound: 0
; FloatMode: 240
; IeeeMode: 1
; LDSByteSize: 0 bytes/workgroup (compile time only)
; SGPRBlocks: 1
; VGPRBlocks: 0
; NumSGPRsForWavesPerEU: 14
; NumVGPRsForWavesPerEU: 3
; Occupancy: 10
; WaveLimiterHint : 0
; COMPUTE_PGM_RSRC2:SCRATCH_EN: 0
; COMPUTE_PGM_RSRC2:USER_SGPR: 6
; COMPUTE_PGM_RSRC2:TRAP_HANDLER: 0
; COMPUTE_PGM_RSRC2:TGID_X_EN: 1
; COMPUTE_PGM_RSRC2:TGID_Y_EN: 0
; COMPUTE_PGM_RSRC2:TGID_Z_EN: 0
; COMPUTE_PGM_RSRC2:TIDIG_COMP_CNT: 0
	.section	.text._ZN7rocprim17ROCPRIM_304000_NS6detail45device_block_merge_mergepath_partition_kernelINS1_37wrapped_merge_sort_block_merge_configINS0_14default_configEtN2at4cuda3cub6detail10OpaqueTypeILi8EEEEEPtjNS1_19radix_merge_compareILb1ELb1EtNS0_19identity_decomposerEEEEEvT0_T1_jPSH_T2_SH_,"axG",@progbits,_ZN7rocprim17ROCPRIM_304000_NS6detail45device_block_merge_mergepath_partition_kernelINS1_37wrapped_merge_sort_block_merge_configINS0_14default_configEtN2at4cuda3cub6detail10OpaqueTypeILi8EEEEEPtjNS1_19radix_merge_compareILb1ELb1EtNS0_19identity_decomposerEEEEEvT0_T1_jPSH_T2_SH_,comdat
	.protected	_ZN7rocprim17ROCPRIM_304000_NS6detail45device_block_merge_mergepath_partition_kernelINS1_37wrapped_merge_sort_block_merge_configINS0_14default_configEtN2at4cuda3cub6detail10OpaqueTypeILi8EEEEEPtjNS1_19radix_merge_compareILb1ELb1EtNS0_19identity_decomposerEEEEEvT0_T1_jPSH_T2_SH_ ; -- Begin function _ZN7rocprim17ROCPRIM_304000_NS6detail45device_block_merge_mergepath_partition_kernelINS1_37wrapped_merge_sort_block_merge_configINS0_14default_configEtN2at4cuda3cub6detail10OpaqueTypeILi8EEEEEPtjNS1_19radix_merge_compareILb1ELb1EtNS0_19identity_decomposerEEEEEvT0_T1_jPSH_T2_SH_
	.globl	_ZN7rocprim17ROCPRIM_304000_NS6detail45device_block_merge_mergepath_partition_kernelINS1_37wrapped_merge_sort_block_merge_configINS0_14default_configEtN2at4cuda3cub6detail10OpaqueTypeILi8EEEEEPtjNS1_19radix_merge_compareILb1ELb1EtNS0_19identity_decomposerEEEEEvT0_T1_jPSH_T2_SH_
	.p2align	8
	.type	_ZN7rocprim17ROCPRIM_304000_NS6detail45device_block_merge_mergepath_partition_kernelINS1_37wrapped_merge_sort_block_merge_configINS0_14default_configEtN2at4cuda3cub6detail10OpaqueTypeILi8EEEEEPtjNS1_19radix_merge_compareILb1ELb1EtNS0_19identity_decomposerEEEEEvT0_T1_jPSH_T2_SH_,@function
_ZN7rocprim17ROCPRIM_304000_NS6detail45device_block_merge_mergepath_partition_kernelINS1_37wrapped_merge_sort_block_merge_configINS0_14default_configEtN2at4cuda3cub6detail10OpaqueTypeILi8EEEEEPtjNS1_19radix_merge_compareILb1ELb1EtNS0_19identity_decomposerEEEEEvT0_T1_jPSH_T2_SH_: ; @_ZN7rocprim17ROCPRIM_304000_NS6detail45device_block_merge_mergepath_partition_kernelINS1_37wrapped_merge_sort_block_merge_configINS0_14default_configEtN2at4cuda3cub6detail10OpaqueTypeILi8EEEEEPtjNS1_19radix_merge_compareILb1ELb1EtNS0_19identity_decomposerEEEEEvT0_T1_jPSH_T2_SH_
; %bb.0:
	s_load_dwordx2 s[2:3], s[4:5], 0x8
	v_lshl_or_b32 v0, s6, 7, v0
	s_waitcnt lgkmcnt(0)
	v_cmp_gt_u32_e32 vcc, s3, v0
	s_and_saveexec_b64 s[0:1], vcc
	s_cbranch_execz .LBB7_6
; %bb.1:
	s_load_dwordx2 s[0:1], s[4:5], 0x18
	s_waitcnt lgkmcnt(0)
	s_lshr_b32 s3, s1, 9
	s_and_b32 s3, s3, 0x7ffffe
	s_add_i32 s6, s3, -1
	s_sub_i32 s3, 0, s3
	v_and_b32_e32 v1, s3, v0
	v_lshlrev_b32_e32 v3, 10, v1
	v_min_u32_e32 v1, s2, v3
	v_add_u32_e32 v3, s1, v3
	v_min_u32_e32 v3, s2, v3
	v_add_u32_e32 v4, s1, v3
	v_and_b32_e32 v2, s6, v0
	v_min_u32_e32 v4, s2, v4
	v_lshlrev_b32_e32 v2, 10, v2
	v_sub_u32_e32 v5, v4, v1
	v_min_u32_e32 v6, v5, v2
	v_sub_u32_e32 v2, v3, v1
	v_sub_u32_e32 v4, v4, v3
	v_sub_u32_e64 v5, v6, v4 clamp
	v_min_u32_e32 v7, v6, v2
	v_cmp_lt_u32_e32 vcc, v5, v7
	s_and_saveexec_b64 s[2:3], vcc
	s_cbranch_execz .LBB7_5
; %bb.2:
	s_load_dwordx2 s[6:7], s[4:5], 0x0
	v_mov_b32_e32 v4, 0
	v_mov_b32_e32 v2, v4
	v_lshlrev_b64 v[8:9], 1, v[1:2]
	s_waitcnt lgkmcnt(0)
	v_mov_b32_e32 v11, s7
	v_add_co_u32_e32 v2, vcc, s6, v8
	v_addc_co_u32_e32 v8, vcc, v11, v9, vcc
	v_lshlrev_b64 v[9:10], 1, v[3:4]
	v_add_co_u32_e32 v9, vcc, s6, v9
	v_addc_co_u32_e32 v10, vcc, v11, v10, vcc
	s_mov_b64 s[6:7], 0
.LBB7_3:                                ; =>This Inner Loop Header: Depth=1
	v_add_u32_e32 v3, v7, v5
	v_and_b32_e32 v11, -2, v3
	v_lshrrev_b32_e32 v13, 1, v3
	v_add_co_u32_e32 v11, vcc, v2, v11
	v_xad_u32 v3, v13, -1, v6
	v_addc_co_u32_e32 v12, vcc, 0, v8, vcc
	global_load_ushort v14, v[11:12], off
	v_lshlrev_b64 v[11:12], 1, v[3:4]
	v_add_co_u32_e32 v11, vcc, v9, v11
	v_addc_co_u32_e32 v12, vcc, v10, v12, vcc
	global_load_ushort v3, v[11:12], off
	v_add_u32_e32 v11, 1, v13
	s_waitcnt vmcnt(1)
	v_and_b32_e32 v12, s0, v14
	s_waitcnt vmcnt(0)
	v_and_b32_e32 v3, s0, v3
	v_cmp_gt_u16_e32 vcc, v3, v12
	v_cndmask_b32_e32 v7, v7, v13, vcc
	v_cndmask_b32_e32 v5, v11, v5, vcc
	v_cmp_ge_u32_e32 vcc, v5, v7
	s_or_b64 s[6:7], vcc, s[6:7]
	s_andn2_b64 exec, exec, s[6:7]
	s_cbranch_execnz .LBB7_3
; %bb.4:
	s_or_b64 exec, exec, s[6:7]
.LBB7_5:
	s_or_b64 exec, exec, s[2:3]
	s_load_dwordx2 s[0:1], s[4:5], 0x10
	v_add_u32_e32 v2, v5, v1
	v_mov_b32_e32 v1, 0
	v_lshlrev_b64 v[0:1], 2, v[0:1]
	s_waitcnt lgkmcnt(0)
	v_mov_b32_e32 v3, s1
	v_add_co_u32_e32 v0, vcc, s0, v0
	v_addc_co_u32_e32 v1, vcc, v3, v1, vcc
	global_store_dword v[0:1], v2, off
.LBB7_6:
	s_endpgm
	.section	.rodata,"a",@progbits
	.p2align	6, 0x0
	.amdhsa_kernel _ZN7rocprim17ROCPRIM_304000_NS6detail45device_block_merge_mergepath_partition_kernelINS1_37wrapped_merge_sort_block_merge_configINS0_14default_configEtN2at4cuda3cub6detail10OpaqueTypeILi8EEEEEPtjNS1_19radix_merge_compareILb1ELb1EtNS0_19identity_decomposerEEEEEvT0_T1_jPSH_T2_SH_
		.amdhsa_group_segment_fixed_size 0
		.amdhsa_private_segment_fixed_size 0
		.amdhsa_kernarg_size 32
		.amdhsa_user_sgpr_count 6
		.amdhsa_user_sgpr_private_segment_buffer 1
		.amdhsa_user_sgpr_dispatch_ptr 0
		.amdhsa_user_sgpr_queue_ptr 0
		.amdhsa_user_sgpr_kernarg_segment_ptr 1
		.amdhsa_user_sgpr_dispatch_id 0
		.amdhsa_user_sgpr_flat_scratch_init 0
		.amdhsa_user_sgpr_private_segment_size 0
		.amdhsa_uses_dynamic_stack 0
		.amdhsa_system_sgpr_private_segment_wavefront_offset 0
		.amdhsa_system_sgpr_workgroup_id_x 1
		.amdhsa_system_sgpr_workgroup_id_y 0
		.amdhsa_system_sgpr_workgroup_id_z 0
		.amdhsa_system_sgpr_workgroup_info 0
		.amdhsa_system_vgpr_workitem_id 0
		.amdhsa_next_free_vgpr 15
		.amdhsa_next_free_sgpr 8
		.amdhsa_reserve_vcc 1
		.amdhsa_reserve_flat_scratch 0
		.amdhsa_float_round_mode_32 0
		.amdhsa_float_round_mode_16_64 0
		.amdhsa_float_denorm_mode_32 3
		.amdhsa_float_denorm_mode_16_64 3
		.amdhsa_dx10_clamp 1
		.amdhsa_ieee_mode 1
		.amdhsa_fp16_overflow 0
		.amdhsa_exception_fp_ieee_invalid_op 0
		.amdhsa_exception_fp_denorm_src 0
		.amdhsa_exception_fp_ieee_div_zero 0
		.amdhsa_exception_fp_ieee_overflow 0
		.amdhsa_exception_fp_ieee_underflow 0
		.amdhsa_exception_fp_ieee_inexact 0
		.amdhsa_exception_int_div_zero 0
	.end_amdhsa_kernel
	.section	.text._ZN7rocprim17ROCPRIM_304000_NS6detail45device_block_merge_mergepath_partition_kernelINS1_37wrapped_merge_sort_block_merge_configINS0_14default_configEtN2at4cuda3cub6detail10OpaqueTypeILi8EEEEEPtjNS1_19radix_merge_compareILb1ELb1EtNS0_19identity_decomposerEEEEEvT0_T1_jPSH_T2_SH_,"axG",@progbits,_ZN7rocprim17ROCPRIM_304000_NS6detail45device_block_merge_mergepath_partition_kernelINS1_37wrapped_merge_sort_block_merge_configINS0_14default_configEtN2at4cuda3cub6detail10OpaqueTypeILi8EEEEEPtjNS1_19radix_merge_compareILb1ELb1EtNS0_19identity_decomposerEEEEEvT0_T1_jPSH_T2_SH_,comdat
.Lfunc_end7:
	.size	_ZN7rocprim17ROCPRIM_304000_NS6detail45device_block_merge_mergepath_partition_kernelINS1_37wrapped_merge_sort_block_merge_configINS0_14default_configEtN2at4cuda3cub6detail10OpaqueTypeILi8EEEEEPtjNS1_19radix_merge_compareILb1ELb1EtNS0_19identity_decomposerEEEEEvT0_T1_jPSH_T2_SH_, .Lfunc_end7-_ZN7rocprim17ROCPRIM_304000_NS6detail45device_block_merge_mergepath_partition_kernelINS1_37wrapped_merge_sort_block_merge_configINS0_14default_configEtN2at4cuda3cub6detail10OpaqueTypeILi8EEEEEPtjNS1_19radix_merge_compareILb1ELb1EtNS0_19identity_decomposerEEEEEvT0_T1_jPSH_T2_SH_
                                        ; -- End function
	.set _ZN7rocprim17ROCPRIM_304000_NS6detail45device_block_merge_mergepath_partition_kernelINS1_37wrapped_merge_sort_block_merge_configINS0_14default_configEtN2at4cuda3cub6detail10OpaqueTypeILi8EEEEEPtjNS1_19radix_merge_compareILb1ELb1EtNS0_19identity_decomposerEEEEEvT0_T1_jPSH_T2_SH_.num_vgpr, 15
	.set _ZN7rocprim17ROCPRIM_304000_NS6detail45device_block_merge_mergepath_partition_kernelINS1_37wrapped_merge_sort_block_merge_configINS0_14default_configEtN2at4cuda3cub6detail10OpaqueTypeILi8EEEEEPtjNS1_19radix_merge_compareILb1ELb1EtNS0_19identity_decomposerEEEEEvT0_T1_jPSH_T2_SH_.num_agpr, 0
	.set _ZN7rocprim17ROCPRIM_304000_NS6detail45device_block_merge_mergepath_partition_kernelINS1_37wrapped_merge_sort_block_merge_configINS0_14default_configEtN2at4cuda3cub6detail10OpaqueTypeILi8EEEEEPtjNS1_19radix_merge_compareILb1ELb1EtNS0_19identity_decomposerEEEEEvT0_T1_jPSH_T2_SH_.numbered_sgpr, 8
	.set _ZN7rocprim17ROCPRIM_304000_NS6detail45device_block_merge_mergepath_partition_kernelINS1_37wrapped_merge_sort_block_merge_configINS0_14default_configEtN2at4cuda3cub6detail10OpaqueTypeILi8EEEEEPtjNS1_19radix_merge_compareILb1ELb1EtNS0_19identity_decomposerEEEEEvT0_T1_jPSH_T2_SH_.num_named_barrier, 0
	.set _ZN7rocprim17ROCPRIM_304000_NS6detail45device_block_merge_mergepath_partition_kernelINS1_37wrapped_merge_sort_block_merge_configINS0_14default_configEtN2at4cuda3cub6detail10OpaqueTypeILi8EEEEEPtjNS1_19radix_merge_compareILb1ELb1EtNS0_19identity_decomposerEEEEEvT0_T1_jPSH_T2_SH_.private_seg_size, 0
	.set _ZN7rocprim17ROCPRIM_304000_NS6detail45device_block_merge_mergepath_partition_kernelINS1_37wrapped_merge_sort_block_merge_configINS0_14default_configEtN2at4cuda3cub6detail10OpaqueTypeILi8EEEEEPtjNS1_19radix_merge_compareILb1ELb1EtNS0_19identity_decomposerEEEEEvT0_T1_jPSH_T2_SH_.uses_vcc, 1
	.set _ZN7rocprim17ROCPRIM_304000_NS6detail45device_block_merge_mergepath_partition_kernelINS1_37wrapped_merge_sort_block_merge_configINS0_14default_configEtN2at4cuda3cub6detail10OpaqueTypeILi8EEEEEPtjNS1_19radix_merge_compareILb1ELb1EtNS0_19identity_decomposerEEEEEvT0_T1_jPSH_T2_SH_.uses_flat_scratch, 0
	.set _ZN7rocprim17ROCPRIM_304000_NS6detail45device_block_merge_mergepath_partition_kernelINS1_37wrapped_merge_sort_block_merge_configINS0_14default_configEtN2at4cuda3cub6detail10OpaqueTypeILi8EEEEEPtjNS1_19radix_merge_compareILb1ELb1EtNS0_19identity_decomposerEEEEEvT0_T1_jPSH_T2_SH_.has_dyn_sized_stack, 0
	.set _ZN7rocprim17ROCPRIM_304000_NS6detail45device_block_merge_mergepath_partition_kernelINS1_37wrapped_merge_sort_block_merge_configINS0_14default_configEtN2at4cuda3cub6detail10OpaqueTypeILi8EEEEEPtjNS1_19radix_merge_compareILb1ELb1EtNS0_19identity_decomposerEEEEEvT0_T1_jPSH_T2_SH_.has_recursion, 0
	.set _ZN7rocprim17ROCPRIM_304000_NS6detail45device_block_merge_mergepath_partition_kernelINS1_37wrapped_merge_sort_block_merge_configINS0_14default_configEtN2at4cuda3cub6detail10OpaqueTypeILi8EEEEEPtjNS1_19radix_merge_compareILb1ELb1EtNS0_19identity_decomposerEEEEEvT0_T1_jPSH_T2_SH_.has_indirect_call, 0
	.section	.AMDGPU.csdata,"",@progbits
; Kernel info:
; codeLenInByte = 368
; TotalNumSgprs: 12
; NumVgprs: 15
; ScratchSize: 0
; MemoryBound: 0
; FloatMode: 240
; IeeeMode: 1
; LDSByteSize: 0 bytes/workgroup (compile time only)
; SGPRBlocks: 1
; VGPRBlocks: 3
; NumSGPRsForWavesPerEU: 12
; NumVGPRsForWavesPerEU: 15
; Occupancy: 10
; WaveLimiterHint : 0
; COMPUTE_PGM_RSRC2:SCRATCH_EN: 0
; COMPUTE_PGM_RSRC2:USER_SGPR: 6
; COMPUTE_PGM_RSRC2:TRAP_HANDLER: 0
; COMPUTE_PGM_RSRC2:TGID_X_EN: 1
; COMPUTE_PGM_RSRC2:TGID_Y_EN: 0
; COMPUTE_PGM_RSRC2:TGID_Z_EN: 0
; COMPUTE_PGM_RSRC2:TIDIG_COMP_CNT: 0
	.section	.text._ZN7rocprim17ROCPRIM_304000_NS6detail35device_block_merge_mergepath_kernelINS1_37wrapped_merge_sort_block_merge_configINS0_14default_configEtN2at4cuda3cub6detail10OpaqueTypeILi8EEEEEPtSC_PSA_SD_jNS1_19radix_merge_compareILb1ELb1EtNS0_19identity_decomposerEEEEEvT0_T1_T2_T3_T4_SL_jT5_PKSL_NS1_7vsmem_tE,"axG",@progbits,_ZN7rocprim17ROCPRIM_304000_NS6detail35device_block_merge_mergepath_kernelINS1_37wrapped_merge_sort_block_merge_configINS0_14default_configEtN2at4cuda3cub6detail10OpaqueTypeILi8EEEEEPtSC_PSA_SD_jNS1_19radix_merge_compareILb1ELb1EtNS0_19identity_decomposerEEEEEvT0_T1_T2_T3_T4_SL_jT5_PKSL_NS1_7vsmem_tE,comdat
	.protected	_ZN7rocprim17ROCPRIM_304000_NS6detail35device_block_merge_mergepath_kernelINS1_37wrapped_merge_sort_block_merge_configINS0_14default_configEtN2at4cuda3cub6detail10OpaqueTypeILi8EEEEEPtSC_PSA_SD_jNS1_19radix_merge_compareILb1ELb1EtNS0_19identity_decomposerEEEEEvT0_T1_T2_T3_T4_SL_jT5_PKSL_NS1_7vsmem_tE ; -- Begin function _ZN7rocprim17ROCPRIM_304000_NS6detail35device_block_merge_mergepath_kernelINS1_37wrapped_merge_sort_block_merge_configINS0_14default_configEtN2at4cuda3cub6detail10OpaqueTypeILi8EEEEEPtSC_PSA_SD_jNS1_19radix_merge_compareILb1ELb1EtNS0_19identity_decomposerEEEEEvT0_T1_T2_T3_T4_SL_jT5_PKSL_NS1_7vsmem_tE
	.globl	_ZN7rocprim17ROCPRIM_304000_NS6detail35device_block_merge_mergepath_kernelINS1_37wrapped_merge_sort_block_merge_configINS0_14default_configEtN2at4cuda3cub6detail10OpaqueTypeILi8EEEEEPtSC_PSA_SD_jNS1_19radix_merge_compareILb1ELb1EtNS0_19identity_decomposerEEEEEvT0_T1_T2_T3_T4_SL_jT5_PKSL_NS1_7vsmem_tE
	.p2align	8
	.type	_ZN7rocprim17ROCPRIM_304000_NS6detail35device_block_merge_mergepath_kernelINS1_37wrapped_merge_sort_block_merge_configINS0_14default_configEtN2at4cuda3cub6detail10OpaqueTypeILi8EEEEEPtSC_PSA_SD_jNS1_19radix_merge_compareILb1ELb1EtNS0_19identity_decomposerEEEEEvT0_T1_T2_T3_T4_SL_jT5_PKSL_NS1_7vsmem_tE,@function
_ZN7rocprim17ROCPRIM_304000_NS6detail35device_block_merge_mergepath_kernelINS1_37wrapped_merge_sort_block_merge_configINS0_14default_configEtN2at4cuda3cub6detail10OpaqueTypeILi8EEEEEPtSC_PSA_SD_jNS1_19radix_merge_compareILb1ELb1EtNS0_19identity_decomposerEEEEEvT0_T1_T2_T3_T4_SL_jT5_PKSL_NS1_7vsmem_tE: ; @_ZN7rocprim17ROCPRIM_304000_NS6detail35device_block_merge_mergepath_kernelINS1_37wrapped_merge_sort_block_merge_configINS0_14default_configEtN2at4cuda3cub6detail10OpaqueTypeILi8EEEEEPtSC_PSA_SD_jNS1_19radix_merge_compareILb1ELb1EtNS0_19identity_decomposerEEEEEvT0_T1_T2_T3_T4_SL_jT5_PKSL_NS1_7vsmem_tE
; %bb.0:
	s_load_dwordx2 s[10:11], s[4:5], 0x40
	s_load_dwordx4 s[20:23], s[4:5], 0x20
	s_add_u32 s2, s4, 64
	s_addc_u32 s3, s5, 0
	s_waitcnt lgkmcnt(0)
	s_mul_i32 s0, s11, s8
	s_add_i32 s0, s0, s7
	s_mul_i32 s0, s0, s10
	s_add_i32 s0, s0, s6
	s_cmp_ge_u32 s0, s22
	s_cbranch_scc1 .LBB8_105
; %bb.1:
	s_load_dwordx8 s[12:19], s[4:5], 0x0
	s_load_dwordx2 s[8:9], s[4:5], 0x30
	s_lshr_b32 s11, s20, 10
	s_cmp_lg_u32 s0, s11
	s_mov_b32 s1, 0
	s_cselect_b64 s[24:25], -1, 0
	s_lshl_b64 s[4:5], s[0:1], 2
	s_waitcnt lgkmcnt(0)
	s_add_u32 s4, s8, s4
	s_addc_u32 s5, s9, s5
	s_load_dwordx2 s[26:27], s[4:5], 0x0
	s_lshr_b32 s4, s21, 9
	s_and_b32 s4, s4, 0x7ffffe
	s_sub_i32 s4, 0, s4
	s_and_b32 s5, s0, s4
	s_lshl_b32 s7, s5, 10
	s_lshl_b32 s22, s0, 10
	;; [unrolled: 1-line block ×3, first 2 shown]
	s_sub_i32 s8, s22, s7
	s_add_i32 s5, s5, s21
	s_add_i32 s8, s5, s8
	s_waitcnt lgkmcnt(0)
	s_sub_i32 s9, s8, s26
	s_sub_i32 s8, s8, s27
	;; [unrolled: 1-line block ×3, first 2 shown]
	s_min_u32 s28, s20, s9
	s_addk_i32 s8, 0x400
	s_or_b32 s4, s0, s4
	s_min_u32 s7, s20, s5
	s_add_i32 s5, s5, s21
	s_cmp_eq_u32 s4, -1
	s_cselect_b32 s4, s5, s8
	s_cselect_b32 s5, s7, s27
	s_min_u32 s4, s4, s20
	s_mov_b32 s27, s1
	s_sub_i32 s33, s5, s26
	s_sub_i32 s34, s4, s28
	s_lshl_b64 s[8:9], s[26:27], 1
	s_add_u32 s5, s12, s8
	s_mov_b32 s29, s1
	s_addc_u32 s7, s13, s9
	s_lshl_b64 s[8:9], s[28:29], 1
	s_add_u32 s4, s12, s8
	v_mov_b32_e32 v6, 0
	global_load_dword v1, v6, s[2:3] offset:14
	s_addc_u32 s8, s13, s9
	s_cmp_lt_u32 s6, s10
	s_cselect_b32 s1, 12, 18
	s_add_u32 s2, s2, s1
	s_addc_u32 s3, s3, 0
	global_load_ushort v2, v6, s[2:3]
	s_cmp_eq_u32 s0, s11
	v_cmp_gt_u32_e32 vcc, s33, v0
	v_lshlrev_b32_e32 v9, 1, v0
	s_waitcnt vmcnt(1)
	v_lshrrev_b32_e32 v3, 16, v1
	v_and_b32_e32 v1, 0xffff, v1
	v_mul_lo_u32 v1, v1, v3
	s_waitcnt vmcnt(0)
	v_mul_lo_u32 v7, v1, v2
	v_add_u32_e32 v5, v7, v0
	s_cbranch_scc1 .LBB8_3
; %bb.2:
	v_mov_b32_e32 v1, s7
	v_add_co_u32_e64 v3, s[0:1], s5, v9
	v_subrev_u32_e32 v2, s33, v0
	v_addc_co_u32_e64 v1, s[0:1], 0, v1, s[0:1]
	v_lshlrev_b32_e32 v2, 1, v2
	v_mov_b32_e32 v4, s8
	v_add_co_u32_e64 v8, s[0:1], s4, v2
	v_addc_co_u32_e64 v2, s[0:1], 0, v4, s[0:1]
	v_cndmask_b32_e32 v2, v2, v1, vcc
	v_cndmask_b32_e32 v1, v8, v3, vcc
	global_load_ushort v4, v[1:2], off
	v_lshlrev_b64 v[1:2], 1, v[5:6]
	v_mov_b32_e32 v3, s7
	v_add_co_u32_e32 v8, vcc, s5, v1
	v_addc_co_u32_e32 v3, vcc, v3, v2, vcc
	v_subrev_co_u32_e32 v1, vcc, s33, v5
	v_mov_b32_e32 v2, v6
	v_lshlrev_b64 v[1:2], 1, v[1:2]
	v_mov_b32_e32 v10, s8
	v_add_co_u32_e64 v1, s[0:1], s4, v1
	v_addc_co_u32_e64 v2, s[0:1], v10, v2, s[0:1]
	v_cndmask_b32_e32 v2, v2, v3, vcc
	v_cndmask_b32_e32 v1, v1, v8, vcc
	global_load_ushort v8, v[1:2], off
	v_add_u32_e32 v1, v5, v7
	v_mov_b32_e32 v2, v6
	v_lshlrev_b64 v[2:3], 1, v[1:2]
	v_mov_b32_e32 v10, s7
	v_add_co_u32_e32 v11, vcc, s5, v2
	v_addc_co_u32_e32 v10, vcc, v10, v3, vcc
	v_subrev_co_u32_e32 v2, vcc, s33, v1
	v_mov_b32_e32 v3, v6
	v_lshlrev_b64 v[2:3], 1, v[2:3]
	v_mov_b32_e32 v12, s8
	v_add_co_u32_e64 v2, s[0:1], s4, v2
	v_addc_co_u32_e64 v3, s[0:1], v12, v3, s[0:1]
	v_cndmask_b32_e32 v3, v3, v10, vcc
	v_cndmask_b32_e32 v2, v2, v11, vcc
	global_load_ushort v10, v[2:3], off
	v_add_u32_e32 v1, v1, v7
	v_mov_b32_e32 v2, v6
	;; [unrolled: 15-line block ×6, first 2 shown]
	v_lshlrev_b64 v[2:3], 1, v[1:2]
	v_mov_b32_e32 v15, s7
	v_add_co_u32_e32 v16, vcc, s5, v2
	v_addc_co_u32_e32 v3, vcc, v15, v3, vcc
	v_subrev_co_u32_e32 v1, vcc, s33, v1
	v_mov_b32_e32 v2, v6
	v_lshlrev_b64 v[1:2], 1, v[1:2]
	v_mov_b32_e32 v6, s8
	v_add_co_u32_e64 v1, s[0:1], s4, v1
	v_addc_co_u32_e64 v2, s[0:1], v6, v2, s[0:1]
	v_cndmask_b32_e32 v2, v2, v3, vcc
	v_cndmask_b32_e32 v1, v1, v16, vcc
	global_load_ushort v6, v[1:2], off
	s_mov_b32 s0, 0x5040100
	s_waitcnt vmcnt(6)
	v_perm_b32 v1, v8, v4, s0
	s_waitcnt vmcnt(4)
	v_perm_b32 v2, v11, v10, s0
	s_add_i32 s21, s34, s33
	s_waitcnt vmcnt(2)
	v_perm_b32 v3, v13, v12, s0
	s_waitcnt vmcnt(0)
	v_perm_b32 v4, v6, v14, s0
	s_cbranch_execz .LBB8_4
	s_branch .LBB8_21
.LBB8_3:
                                        ; implicit-def: $vgpr1_vgpr2_vgpr3_vgpr4
                                        ; implicit-def: $sgpr21
.LBB8_4:
	s_add_i32 s21, s34, s33
	v_mov_b32_e32 v1, 0
	v_cmp_gt_u32_e32 vcc, s21, v0
	v_mov_b32_e32 v2, v1
	v_mov_b32_e32 v3, v1
	;; [unrolled: 1-line block ×3, first 2 shown]
	s_and_saveexec_b64 s[0:1], vcc
	s_cbranch_execz .LBB8_6
; %bb.5:
	v_mov_b32_e32 v2, s7
	v_add_co_u32_e32 v4, vcc, s5, v9
	v_subrev_u32_e32 v3, s33, v0
	v_addc_co_u32_e32 v2, vcc, 0, v2, vcc
	v_lshlrev_b32_e32 v3, 1, v3
	v_mov_b32_e32 v6, s8
	v_add_co_u32_e32 v8, vcc, s4, v3
	v_addc_co_u32_e32 v3, vcc, 0, v6, vcc
	v_cmp_gt_u32_e32 vcc, s33, v0
	v_cndmask_b32_e32 v3, v3, v2, vcc
	v_cndmask_b32_e32 v2, v8, v4, vcc
	global_load_ushort v2, v[2:3], off
	v_mov_b32_e32 v11, v1
	v_mov_b32_e32 v12, v1
	;; [unrolled: 1-line block ×3, first 2 shown]
	s_waitcnt vmcnt(0)
	v_and_b32_e32 v10, 0xffff, v2
	v_mov_b32_e32 v1, v10
	v_mov_b32_e32 v2, v11
	v_mov_b32_e32 v3, v12
	v_mov_b32_e32 v4, v13
.LBB8_6:
	s_or_b64 exec, exec, s[0:1]
	v_cmp_gt_u32_e32 vcc, s21, v5
	s_and_saveexec_b64 s[2:3], vcc
	s_cbranch_execz .LBB8_8
; %bb.7:
	v_mov_b32_e32 v6, 0
	v_lshlrev_b64 v[10:11], 1, v[5:6]
	v_mov_b32_e32 v8, s7
	v_add_co_u32_e32 v12, vcc, s5, v10
	v_addc_co_u32_e32 v8, vcc, v8, v11, vcc
	v_subrev_co_u32_e32 v10, vcc, s33, v5
	v_mov_b32_e32 v11, v6
	v_lshlrev_b64 v[10:11], 1, v[10:11]
	v_mov_b32_e32 v6, s8
	v_add_co_u32_e64 v10, s[0:1], s4, v10
	v_addc_co_u32_e64 v6, s[0:1], v6, v11, s[0:1]
	v_cndmask_b32_e32 v11, v6, v8, vcc
	v_cndmask_b32_e32 v10, v10, v12, vcc
	global_load_ushort v6, v[10:11], off
	s_mov_b32 s0, 0x5040100
	s_waitcnt vmcnt(0)
	v_perm_b32 v1, v6, v1, s0
.LBB8_8:
	s_or_b64 exec, exec, s[2:3]
	v_add_u32_e32 v5, v5, v7
	v_cmp_gt_u32_e32 vcc, s21, v5
	s_and_saveexec_b64 s[2:3], vcc
	s_cbranch_execz .LBB8_10
; %bb.9:
	v_mov_b32_e32 v6, 0
	v_lshlrev_b64 v[10:11], 1, v[5:6]
	v_mov_b32_e32 v8, s7
	v_add_co_u32_e32 v12, vcc, s5, v10
	v_addc_co_u32_e32 v8, vcc, v8, v11, vcc
	v_subrev_co_u32_e32 v10, vcc, s33, v5
	v_mov_b32_e32 v11, v6
	v_lshlrev_b64 v[10:11], 1, v[10:11]
	v_mov_b32_e32 v6, s8
	v_add_co_u32_e64 v10, s[0:1], s4, v10
	v_addc_co_u32_e64 v6, s[0:1], v6, v11, s[0:1]
	v_cndmask_b32_e32 v11, v6, v8, vcc
	v_cndmask_b32_e32 v10, v10, v12, vcc
	global_load_ushort v6, v[10:11], off
	s_mov_b32 s0, 0xffff
	s_waitcnt vmcnt(0)
	v_bfi_b32 v2, s0, v6, v2
.LBB8_10:
	s_or_b64 exec, exec, s[2:3]
	v_add_u32_e32 v5, v5, v7
	v_cmp_gt_u32_e32 vcc, s21, v5
	s_and_saveexec_b64 s[2:3], vcc
	s_cbranch_execz .LBB8_12
; %bb.11:
	v_mov_b32_e32 v6, 0
	v_lshlrev_b64 v[10:11], 1, v[5:6]
	v_mov_b32_e32 v8, s7
	v_add_co_u32_e32 v12, vcc, s5, v10
	v_addc_co_u32_e32 v8, vcc, v8, v11, vcc
	v_subrev_co_u32_e32 v10, vcc, s33, v5
	v_mov_b32_e32 v11, v6
	v_lshlrev_b64 v[10:11], 1, v[10:11]
	v_mov_b32_e32 v6, s8
	v_add_co_u32_e64 v10, s[0:1], s4, v10
	v_addc_co_u32_e64 v6, s[0:1], v6, v11, s[0:1]
	v_cndmask_b32_e32 v11, v6, v8, vcc
	v_cndmask_b32_e32 v10, v10, v12, vcc
	global_load_ushort v6, v[10:11], off
	s_mov_b32 s0, 0x5040100
	s_waitcnt vmcnt(0)
	v_perm_b32 v2, v6, v2, s0
.LBB8_12:
	s_or_b64 exec, exec, s[2:3]
	v_add_u32_e32 v5, v5, v7
	v_cmp_gt_u32_e32 vcc, s21, v5
	s_and_saveexec_b64 s[2:3], vcc
	s_cbranch_execz .LBB8_14
; %bb.13:
	v_mov_b32_e32 v6, 0
	v_lshlrev_b64 v[10:11], 1, v[5:6]
	v_mov_b32_e32 v8, s7
	v_add_co_u32_e32 v12, vcc, s5, v10
	v_addc_co_u32_e32 v8, vcc, v8, v11, vcc
	v_subrev_co_u32_e32 v10, vcc, s33, v5
	v_mov_b32_e32 v11, v6
	v_lshlrev_b64 v[10:11], 1, v[10:11]
	v_mov_b32_e32 v6, s8
	v_add_co_u32_e64 v10, s[0:1], s4, v10
	v_addc_co_u32_e64 v6, s[0:1], v6, v11, s[0:1]
	v_cndmask_b32_e32 v11, v6, v8, vcc
	v_cndmask_b32_e32 v10, v10, v12, vcc
	global_load_ushort v6, v[10:11], off
	s_mov_b32 s0, 0xffff
	s_waitcnt vmcnt(0)
	v_bfi_b32 v3, s0, v6, v3
.LBB8_14:
	s_or_b64 exec, exec, s[2:3]
	v_add_u32_e32 v5, v5, v7
	;; [unrolled: 48-line block ×3, first 2 shown]
	v_cmp_gt_u32_e32 vcc, s21, v5
	s_and_saveexec_b64 s[2:3], vcc
	s_cbranch_execz .LBB8_20
; %bb.19:
	v_mov_b32_e32 v6, 0
	v_lshlrev_b64 v[7:8], 1, v[5:6]
	v_mov_b32_e32 v10, s7
	v_add_co_u32_e32 v7, vcc, s5, v7
	v_addc_co_u32_e32 v8, vcc, v10, v8, vcc
	v_subrev_co_u32_e32 v5, vcc, s33, v5
	v_lshlrev_b64 v[5:6], 1, v[5:6]
	v_mov_b32_e32 v10, s8
	v_add_co_u32_e64 v5, s[0:1], s4, v5
	v_addc_co_u32_e64 v6, s[0:1], v10, v6, s[0:1]
	v_cndmask_b32_e32 v6, v6, v8, vcc
	v_cndmask_b32_e32 v5, v5, v7, vcc
	global_load_ushort v5, v[5:6], off
	s_mov_b32 s0, 0x5040100
	s_waitcnt vmcnt(0)
	v_perm_b32 v4, v5, v4, s0
.LBB8_20:
	s_or_b64 exec, exec, s[2:3]
.LBB8_21:
	v_lshlrev_b32_e32 v10, 3, v0
	v_min_u32_e32 v6, s21, v10
	v_sub_u32_e64 v5, v6, s34 clamp
	v_min_u32_e32 v7, s33, v6
	v_cmp_lt_u32_e32 vcc, v5, v7
	ds_write_b16 v9, v1
	ds_write_b16_d16_hi v9, v1 offset:256
	ds_write_b16 v9, v2 offset:512
	ds_write_b16_d16_hi v9, v2 offset:768
	ds_write_b16 v9, v3 offset:1024
	;; [unrolled: 2-line block ×3, first 2 shown]
	ds_write_b16_d16_hi v9, v4 offset:1792
	s_waitcnt lgkmcnt(0)
	s_barrier
	s_and_saveexec_b64 s[0:1], vcc
	s_cbranch_execz .LBB8_25
; %bb.22:
	v_lshlrev_b32_e32 v8, 1, v6
	v_lshl_add_u32 v8, s33, 1, v8
	s_mov_b64 s[2:3], 0
.LBB8_23:                               ; =>This Inner Loop Header: Depth=1
	v_add_u32_e32 v11, v7, v5
	v_lshrrev_b32_e32 v12, 1, v11
	v_not_b32_e32 v13, v12
	v_and_b32_e32 v11, -2, v11
	v_lshl_add_u32 v13, v13, 1, v8
	ds_read_u16 v11, v11
	ds_read_u16 v13, v13
	v_add_u32_e32 v14, 1, v12
	s_waitcnt lgkmcnt(1)
	v_and_b32_e32 v11, s23, v11
	s_waitcnt lgkmcnt(0)
	v_and_b32_e32 v13, s23, v13
	v_cmp_gt_u16_e32 vcc, v13, v11
	v_cndmask_b32_e32 v7, v7, v12, vcc
	v_cndmask_b32_e32 v5, v14, v5, vcc
	v_cmp_ge_u32_e32 vcc, v5, v7
	s_or_b64 s[2:3], vcc, s[2:3]
	s_andn2_b64 exec, exec, s[2:3]
	s_cbranch_execnz .LBB8_23
; %bb.24:
	s_or_b64 exec, exec, s[2:3]
.LBB8_25:
	s_or_b64 exec, exec, s[0:1]
	v_sub_u32_e32 v6, v6, v5
	v_add_u32_e32 v6, s33, v6
	v_cmp_ge_u32_e32 vcc, s33, v5
	v_cmp_ge_u32_e64 s[0:1], s21, v6
	s_or_b64 s[0:1], vcc, s[0:1]
	v_mov_b32_e32 v11, 0
	v_mov_b32_e32 v12, 0
	;; [unrolled: 1-line block ×8, first 2 shown]
	s_and_saveexec_b64 s[30:31], s[0:1]
	s_cbranch_execz .LBB8_31
; %bb.26:
	v_cmp_gt_u32_e32 vcc, s33, v5
                                        ; implicit-def: $vgpr1
	s_and_saveexec_b64 s[0:1], vcc
; %bb.27:
	v_lshlrev_b32_e32 v1, 1, v5
	ds_read_u16 v1, v1
; %bb.28:
	s_or_b64 exec, exec, s[0:1]
	v_cmp_le_u32_e64 s[0:1], s21, v6
	v_cmp_gt_u32_e64 s[2:3], s21, v6
                                        ; implicit-def: $vgpr2
	s_and_saveexec_b64 s[4:5], s[2:3]
; %bb.29:
	v_lshlrev_b32_e32 v2, 1, v6
	ds_read_u16 v2, v2
; %bb.30:
	s_or_b64 exec, exec, s[4:5]
	s_waitcnt lgkmcnt(0)
	v_and_b32_e32 v3, s23, v2
	v_and_b32_e32 v4, s23, v1
	v_cmp_le_u16_e64 s[2:3], v3, v4
	s_and_b64 s[2:3], vcc, s[2:3]
	s_or_b64 vcc, s[0:1], s[2:3]
	v_mov_b32_e32 v3, s21
	v_mov_b32_e32 v4, s33
	v_cndmask_b32_e32 v18, v6, v5, vcc
	v_cndmask_b32_e32 v7, v3, v4, vcc
	v_add_u32_e32 v8, 1, v18
	v_add_u32_e32 v7, -1, v7
	v_min_u32_e32 v7, v8, v7
	v_lshlrev_b32_e32 v7, 1, v7
	ds_read_u16 v7, v7
	v_cndmask_b32_e32 v6, v8, v6, vcc
	v_cndmask_b32_e32 v5, v5, v8, vcc
	v_cmp_gt_u32_e64 s[2:3], s33, v5
	v_cmp_le_u32_e64 s[0:1], s21, v6
	s_waitcnt lgkmcnt(0)
	v_cndmask_b32_e32 v11, v7, v2, vcc
	v_cndmask_b32_e32 v7, v1, v7, vcc
	v_and_b32_e32 v8, s23, v11
	v_and_b32_e32 v12, s23, v7
	v_cmp_le_u16_e64 s[4:5], v8, v12
	s_and_b64 s[2:3], s[2:3], s[4:5]
	s_or_b64 s[0:1], s[0:1], s[2:3]
	v_cndmask_b32_e64 v17, v6, v5, s[0:1]
	v_cndmask_b32_e64 v8, v3, v4, s[0:1]
	v_add_u32_e32 v12, 1, v17
	v_add_u32_e32 v8, -1, v8
	v_min_u32_e32 v8, v12, v8
	v_lshlrev_b32_e32 v8, 1, v8
	ds_read_u16 v8, v8
	v_cndmask_b32_e64 v6, v12, v6, s[0:1]
	v_cndmask_b32_e64 v5, v5, v12, s[0:1]
	v_cmp_gt_u32_e64 s[4:5], s33, v5
	v_cmp_le_u32_e64 s[2:3], s21, v6
	s_waitcnt lgkmcnt(0)
	v_cndmask_b32_e64 v19, v8, v11, s[0:1]
	v_cndmask_b32_e64 v8, v7, v8, s[0:1]
	v_and_b32_e32 v12, s23, v19
	v_and_b32_e32 v13, s23, v8
	v_cmp_le_u16_e64 s[6:7], v12, v13
	s_and_b64 s[4:5], s[4:5], s[6:7]
	s_or_b64 s[2:3], s[2:3], s[4:5]
	v_cndmask_b32_e64 v16, v6, v5, s[2:3]
	v_cndmask_b32_e64 v12, v3, v4, s[2:3]
	v_add_u32_e32 v13, 1, v16
	v_add_u32_e32 v12, -1, v12
	v_min_u32_e32 v12, v13, v12
	v_lshlrev_b32_e32 v12, 1, v12
	ds_read_u16 v12, v12
	v_cndmask_b32_e64 v6, v13, v6, s[2:3]
	v_cndmask_b32_e64 v5, v5, v13, s[2:3]
	v_cmp_gt_u32_e64 s[6:7], s33, v5
	v_cmp_le_u32_e64 s[4:5], s21, v6
	s_waitcnt lgkmcnt(0)
	v_cndmask_b32_e64 v20, v12, v19, s[2:3]
	v_cndmask_b32_e64 v21, v8, v12, s[2:3]
	;; [unrolled: 19-line block ×4, first 2 shown]
	v_and_b32_e32 v12, s23, v24
	v_and_b32_e32 v13, s23, v25
	v_cmp_le_u16_e64 s[12:13], v12, v13
	s_and_b64 s[10:11], s[10:11], s[12:13]
	s_or_b64 s[8:9], s[8:9], s[10:11]
	v_cndmask_b32_e64 v13, v6, v5, s[8:9]
	v_cndmask_b32_e64 v12, v3, v4, s[8:9]
	v_add_u32_e32 v26, 1, v13
	v_add_u32_e32 v12, -1, v12
	v_min_u32_e32 v12, v26, v12
	v_lshlrev_b32_e32 v12, 1, v12
	ds_read_u16 v12, v12
	v_cndmask_b32_e32 v1, v2, v1, vcc
	v_cndmask_b32_e64 v7, v11, v7, s[0:1]
	v_cndmask_b32_e64 v2, v19, v8, s[2:3]
	;; [unrolled: 1-line block ×3, first 2 shown]
	s_waitcnt lgkmcnt(0)
	v_cndmask_b32_e64 v8, v12, v24, s[8:9]
	v_cndmask_b32_e64 v11, v25, v12, s[8:9]
	v_and_b32_e32 v12, s23, v8
	v_and_b32_e32 v19, s23, v11
	v_cndmask_b32_e64 v6, v26, v6, s[8:9]
	v_cmp_gt_u32_e64 s[0:1], s33, v5
	v_cmp_le_u16_e64 s[2:3], v12, v19
	v_cmp_le_u32_e32 vcc, s21, v6
	s_and_b64 s[0:1], s[0:1], s[2:3]
	s_or_b64 vcc, vcc, s[0:1]
	v_cndmask_b32_e32 v12, v6, v5, vcc
	v_cndmask_b32_e32 v3, v3, v4, vcc
	v_add_u32_e32 v4, 1, v12
	v_add_u32_e32 v3, -1, v3
	v_min_u32_e32 v3, v4, v3
	v_lshlrev_b32_e32 v3, 1, v3
	ds_read_u16 v3, v3
	v_cndmask_b32_e64 v19, v20, v21, s[4:5]
	v_cndmask_b32_e64 v20, v22, v23, s[6:7]
	v_cndmask_b32_e32 v22, v8, v11, vcc
	v_cndmask_b32_e32 v6, v4, v6, vcc
	s_waitcnt lgkmcnt(0)
	v_cndmask_b32_e32 v8, v3, v8, vcc
	v_cndmask_b32_e32 v3, v11, v3, vcc
	;; [unrolled: 1-line block ×3, first 2 shown]
	v_and_b32_e32 v5, s23, v8
	v_and_b32_e32 v11, s23, v3
	v_cmp_gt_u32_e64 s[0:1], s33, v4
	v_cmp_le_u16_e64 s[2:3], v5, v11
	v_cmp_le_u32_e32 vcc, s21, v6
	s_and_b64 s[0:1], s[0:1], s[2:3]
	s_or_b64 vcc, vcc, s[0:1]
	v_cndmask_b32_e64 v21, v24, v25, s[8:9]
	v_cndmask_b32_e32 v3, v8, v3, vcc
	s_mov_b32 s0, 0x5040100
	v_cndmask_b32_e32 v11, v6, v4, vcc
	v_perm_b32 v4, v3, v22, s0
	v_perm_b32 v3, v21, v20, s0
	;; [unrolled: 1-line block ×4, first 2 shown]
.LBB8_31:
	s_or_b64 exec, exec, s[30:31]
	s_lshl_b64 s[0:1], s[26:27], 3
	s_add_u32 s8, s16, s0
	s_addc_u32 s9, s17, s1
	s_lshl_b64 s[0:1], s[28:29], 3
	s_add_u32 s6, s16, s0
	v_cndmask_b32_e64 v5, 0, 1, s[24:25]
	s_addc_u32 s7, s17, s1
	v_cmp_gt_u32_e64 s[4:5], s33, v0
	v_cmp_ne_u32_e64 s[0:1], 1, v5
	s_andn2_b64 vcc, exec, s[24:25]
	v_cmp_le_u32_e64 s[2:3], s33, v0
	s_barrier
	s_cbranch_vccnz .LBB8_33
; %bb.32:
	v_mov_b32_e32 v5, s9
	v_add_co_u32_e32 v7, vcc, s8, v10
	v_subrev_u32_e32 v6, s33, v0
	v_addc_co_u32_e32 v5, vcc, 0, v5, vcc
	v_lshlrev_b32_e32 v6, 3, v6
	v_mov_b32_e32 v8, s7
	v_add_co_u32_e32 v19, vcc, s6, v6
	v_addc_co_u32_e32 v6, vcc, 0, v8, vcc
	v_cndmask_b32_e64 v6, v6, v5, s[4:5]
	v_cndmask_b32_e64 v5, v19, v7, s[4:5]
	v_or_b32_e32 v7, 0x80, v0
	v_subrev_u32_e32 v8, s33, v7
	v_min_u32_e32 v8, v7, v8
	v_cmp_gt_u32_e32 vcc, s33, v7
	v_mov_b32_e32 v31, s6
	v_mov_b32_e32 v32, s8
	v_mov_b32_e32 v29, s7
	v_mov_b32_e32 v30, s9
	v_cndmask_b32_e32 v7, v31, v32, vcc
	v_lshlrev_b32_e32 v8, 3, v8
	v_cndmask_b32_e32 v19, v29, v30, vcc
	v_add_co_u32_e32 v7, vcc, v7, v8
	v_addc_co_u32_e32 v8, vcc, 0, v19, vcc
	v_or_b32_e32 v19, 0x100, v0
	v_subrev_u32_e32 v20, s33, v19
	v_min_u32_e32 v20, v19, v20
	v_cmp_gt_u32_e32 vcc, s33, v19
	v_cndmask_b32_e32 v19, v31, v32, vcc
	v_lshlrev_b32_e32 v20, 3, v20
	v_cndmask_b32_e32 v21, v29, v30, vcc
	v_add_co_u32_e32 v19, vcc, v19, v20
	v_addc_co_u32_e32 v20, vcc, 0, v21, vcc
	v_or_b32_e32 v21, 0x180, v0
	v_subrev_u32_e32 v22, s33, v21
	v_min_u32_e32 v22, v21, v22
	v_cmp_gt_u32_e32 vcc, s33, v21
	;; [unrolled: 9-line block ×5, first 2 shown]
	global_load_dwordx2 v[5:6], v[5:6], off
	v_cndmask_b32_e32 v27, v31, v32, vcc
	global_load_dwordx2 v[7:8], v[7:8], off
	v_lshlrev_b32_e32 v28, 3, v28
	global_load_dwordx2 v[19:20], v[19:20], off
	v_cndmask_b32_e32 v33, v29, v30, vcc
	global_load_dwordx2 v[21:22], v[21:22], off
	v_add_co_u32_e32 v27, vcc, v27, v28
	global_load_dwordx2 v[23:24], v[23:24], off
	v_addc_co_u32_e32 v28, vcc, 0, v33, vcc
	global_load_dwordx2 v[25:26], v[25:26], off
	s_nop 0
	global_load_dwordx2 v[27:28], v[27:28], off
	s_mov_b64 s[4:5], -1
	s_waitcnt vmcnt(5)
	ds_write2st64_b64 v10, v[5:6], v[7:8] offset1:2
	s_waitcnt vmcnt(3)
	ds_write2st64_b64 v10, v[19:20], v[21:22] offset0:4 offset1:6
	s_waitcnt vmcnt(1)
	ds_write2st64_b64 v10, v[23:24], v[25:26] offset0:8 offset1:10
	s_waitcnt vmcnt(0)
	ds_write_b64 v10, v[27:28] offset:6144
	v_or_b32_e32 v19, 0x380, v0
	v_subrev_u32_e32 v5, s33, v19
	v_cmp_gt_u32_e32 vcc, s33, v19
	v_min_u32_e32 v7, v19, v5
	v_cndmask_b32_e32 v6, v29, v30, vcc
	v_cndmask_b32_e32 v5, v31, v32, vcc
	s_cbranch_execz .LBB8_34
	s_branch .LBB8_67
.LBB8_33:
	s_mov_b64 s[4:5], 0
                                        ; implicit-def: $vgpr19
                                        ; implicit-def: $vgpr5_vgpr6
                                        ; implicit-def: $vgpr7
.LBB8_34:
	s_and_saveexec_b64 s[4:5], s[2:3]
	s_xor_b64 s[2:3], exec, s[4:5]
	s_cbranch_execz .LBB8_38
; %bb.35:
	v_subrev_u32_e32 v5, s33, v0
	v_cmp_gt_u32_e32 vcc, s34, v5
	s_and_saveexec_b64 s[4:5], vcc
	s_cbranch_execz .LBB8_37
; %bb.36:
	v_lshlrev_b32_e32 v5, 3, v5
	global_load_dwordx2 v[5:6], v5, s[6:7]
	s_waitcnt vmcnt(0)
	ds_write_b64 v10, v[5:6]
.LBB8_37:
	s_or_b64 exec, exec, s[4:5]
.LBB8_38:
	s_or_saveexec_b64 s[2:3], s[2:3]
	v_mad_u32_u24 v7, v0, 6, v9
	s_xor_b64 exec, exec, s[2:3]
	s_cbranch_execz .LBB8_40
; %bb.39:
	global_load_dwordx2 v[5:6], v10, s[8:9]
	s_waitcnt vmcnt(0)
	ds_write_b64 v7, v[5:6]
.LBB8_40:
	s_or_b64 exec, exec, s[2:3]
	v_or_b32_e32 v8, 0x80, v0
	v_mov_b32_e32 v5, s26
	v_cmp_le_u32_e32 vcc, s33, v8
	s_mov_b64 s[2:3], -1
	v_mov_b32_e32 v6, s27
	s_and_saveexec_b64 s[4:5], vcc
; %bb.41:
	v_subrev_u32_e32 v8, s33, v8
	v_cmp_gt_u32_e32 vcc, s34, v8
	v_mov_b32_e32 v5, s28
	v_mov_b32_e32 v6, s29
	s_orn2_b64 s[2:3], vcc, exec
; %bb.42:
	s_or_b64 exec, exec, s[4:5]
	s_and_saveexec_b64 s[4:5], s[2:3]
	s_cbranch_execz .LBB8_44
; %bb.43:
	v_lshlrev_b64 v[5:6], 3, v[5:6]
	v_mov_b32_e32 v19, s17
	v_add_co_u32_e32 v5, vcc, s16, v5
	v_addc_co_u32_e32 v6, vcc, v19, v6, vcc
	v_lshlrev_b32_e32 v8, 3, v8
	v_add_co_u32_e32 v5, vcc, v5, v8
	v_addc_co_u32_e32 v6, vcc, 0, v6, vcc
	global_load_dwordx2 v[5:6], v[5:6], off
	s_waitcnt vmcnt(0)
	ds_write_b64 v7, v[5:6] offset:1024
.LBB8_44:
	s_or_b64 exec, exec, s[4:5]
	v_or_b32_e32 v8, 0x100, v0
	v_mov_b32_e32 v5, s26
	v_cmp_le_u32_e32 vcc, s33, v8
	s_mov_b64 s[2:3], -1
	v_mov_b32_e32 v6, s27
	s_and_saveexec_b64 s[4:5], vcc
; %bb.45:
	v_subrev_u32_e32 v8, s33, v8
	v_cmp_gt_u32_e32 vcc, s34, v8
	v_mov_b32_e32 v5, s28
	v_mov_b32_e32 v6, s29
	s_orn2_b64 s[2:3], vcc, exec
; %bb.46:
	s_or_b64 exec, exec, s[4:5]
	s_and_saveexec_b64 s[4:5], s[2:3]
	s_cbranch_execz .LBB8_48
; %bb.47:
	v_lshlrev_b64 v[5:6], 3, v[5:6]
	v_mov_b32_e32 v19, s17
	v_add_co_u32_e32 v5, vcc, s16, v5
	v_addc_co_u32_e32 v6, vcc, v19, v6, vcc
	v_lshlrev_b32_e32 v8, 3, v8
	v_add_co_u32_e32 v5, vcc, v5, v8
	v_addc_co_u32_e32 v6, vcc, 0, v6, vcc
	global_load_dwordx2 v[5:6], v[5:6], off
	s_waitcnt vmcnt(0)
	ds_write_b64 v7, v[5:6] offset:2048
.LBB8_48:
	;; [unrolled: 29-line block ×6, first 2 shown]
	s_or_b64 exec, exec, s[4:5]
	v_or_b32_e32 v19, 0x380, v0
	v_mov_b32_e32 v5, s8
	v_cmp_le_u32_e32 vcc, s33, v19
	s_mov_b64 s[4:5], -1
	v_mov_b32_e32 v6, s9
	v_mov_b32_e32 v7, v19
	s_and_saveexec_b64 s[2:3], vcc
; %bb.65:
	v_subrev_u32_e32 v7, s33, v19
	v_cmp_gt_u32_e32 vcc, s34, v7
	v_mov_b32_e32 v5, s6
	v_mov_b32_e32 v6, s7
	s_orn2_b64 s[4:5], vcc, exec
; %bb.66:
	s_or_b64 exec, exec, s[2:3]
.LBB8_67:
	s_and_saveexec_b64 s[2:3], s[4:5]
	s_cbranch_execz .LBB8_69
; %bb.68:
	v_mov_b32_e32 v8, 0
	v_lshlrev_b64 v[7:8], 3, v[7:8]
	v_add_co_u32_e32 v5, vcc, v5, v7
	v_addc_co_u32_e32 v6, vcc, v6, v8, vcc
	global_load_dwordx2 v[5:6], v[5:6], off
	v_lshlrev_b32_e32 v7, 3, v19
	s_waitcnt vmcnt(0)
	ds_write_b64 v7, v[5:6]
.LBB8_69:
	s_or_b64 exec, exec, s[2:3]
	s_and_b64 vcc, exec, s[0:1]
	v_add_u32_e32 v5, s22, v10
	s_waitcnt lgkmcnt(0)
	s_barrier
	s_cbranch_vccnz .LBB8_71
; %bb.70:
	v_lshlrev_b32_e32 v19, 3, v18
	v_lshlrev_b32_e32 v21, 3, v17
	;; [unrolled: 1-line block ×7, first 2 shown]
	v_mov_b32_e32 v6, 0
	ds_read_b64 v[19:20], v19
	ds_read_b64 v[21:22], v21
	;; [unrolled: 1-line block ×7, first 2 shown]
	v_lshlrev_b64 v[7:8], 3, v[5:6]
	v_mov_b32_e32 v33, s19
	v_add_co_u32_e32 v7, vcc, s18, v7
	v_addc_co_u32_e32 v8, vcc, v33, v8, vcc
	s_mov_b64 s[0:1], -1
	s_waitcnt lgkmcnt(5)
	global_store_dwordx4 v[7:8], v[19:22], off
	s_waitcnt lgkmcnt(3)
	global_store_dwordx4 v[7:8], v[23:26], off offset:16
	s_waitcnt lgkmcnt(1)
	global_store_dwordx4 v[7:8], v[27:30], off offset:32
	s_waitcnt lgkmcnt(0)
	global_store_dwordx2 v[7:8], v[31:32], off offset:48
	s_cbranch_execz .LBB8_72
	s_branch .LBB8_89
.LBB8_71:
	s_mov_b64 s[0:1], 0
.LBB8_72:
	v_cmp_gt_u32_e32 vcc, s21, v10
	s_and_saveexec_b64 s[2:3], vcc
	s_cbranch_execz .LBB8_74
; %bb.73:
	v_lshlrev_b32_e32 v8, 3, v18
	v_mov_b32_e32 v6, 0
	ds_read_b64 v[18:19], v8
	v_lshlrev_b64 v[6:7], 3, v[5:6]
	v_mov_b32_e32 v20, s19
	v_add_co_u32_e32 v6, vcc, s18, v6
	v_addc_co_u32_e32 v7, vcc, v20, v7, vcc
	s_waitcnt lgkmcnt(0)
	global_store_dwordx2 v[6:7], v[18:19], off
.LBB8_74:
	s_or_b64 exec, exec, s[2:3]
	v_or_b32_e32 v6, 1, v10
	v_cmp_gt_u32_e32 vcc, s21, v6
	s_and_saveexec_b64 s[2:3], vcc
	s_cbranch_execz .LBB8_76
; %bb.75:
	v_lshlrev_b32_e32 v8, 3, v17
	v_mov_b32_e32 v6, 0
	ds_read_b64 v[17:18], v8
	v_lshlrev_b64 v[6:7], 3, v[5:6]
	v_mov_b32_e32 v19, s19
	v_add_co_u32_e32 v6, vcc, s18, v6
	v_addc_co_u32_e32 v7, vcc, v19, v7, vcc
	s_waitcnt lgkmcnt(0)
	global_store_dwordx2 v[6:7], v[17:18], off offset:8
.LBB8_76:
	s_or_b64 exec, exec, s[2:3]
	v_or_b32_e32 v6, 2, v10
	v_cmp_gt_u32_e32 vcc, s21, v6
	s_and_saveexec_b64 s[2:3], vcc
	s_cbranch_execz .LBB8_78
; %bb.77:
	v_lshlrev_b32_e32 v8, 3, v16
	v_mov_b32_e32 v6, 0
	ds_read_b64 v[16:17], v8
	v_lshlrev_b64 v[6:7], 3, v[5:6]
	v_mov_b32_e32 v18, s19
	v_add_co_u32_e32 v6, vcc, s18, v6
	v_addc_co_u32_e32 v7, vcc, v18, v7, vcc
	s_waitcnt lgkmcnt(0)
	global_store_dwordx2 v[6:7], v[16:17], off offset:16
.LBB8_78:
	;; [unrolled: 16-line block ×6, first 2 shown]
	s_or_b64 exec, exec, s[2:3]
	v_or_b32_e32 v6, 7, v10
	v_cmp_gt_u32_e32 vcc, s21, v6
	s_and_saveexec_b64 s[2:3], vcc
; %bb.87:
	v_mov_b32_e32 v6, 0
	s_or_b64 s[0:1], s[0:1], exec
; %bb.88:
	s_or_b64 exec, exec, s[2:3]
.LBB8_89:
	s_and_saveexec_b64 s[2:3], s[0:1]
	s_cbranch_execz .LBB8_91
; %bb.90:
	v_lshlrev_b32_e32 v7, 3, v11
	ds_read_b64 v[7:8], v7
	v_lshlrev_b64 v[5:6], 3, v[5:6]
	v_mov_b32_e32 v11, s19
	v_add_co_u32_e32 v5, vcc, s18, v5
	v_addc_co_u32_e32 v6, vcc, v11, v6, vcc
	s_waitcnt lgkmcnt(0)
	global_store_dwordx2 v[5:6], v[7:8], off offset:56
.LBB8_91:
	s_or_b64 exec, exec, s[2:3]
	v_lshrrev_b32_e32 v5, 1, v0
	v_and_b32_e32 v5, 60, v5
	v_lshl_add_u32 v5, v10, 1, v5
	s_waitcnt vmcnt(0)
	s_barrier
	s_barrier
	ds_write2_b32 v5, v1, v2 offset1:1
	ds_write2_b32 v5, v3, v4 offset0:2 offset1:3
	v_lshrrev_b32_e32 v1, 4, v0
	v_and_b32_e32 v1, 4, v1
	v_or_b32_e32 v11, 0x80, v0
	v_add_u32_e32 v12, v1, v9
	v_lshrrev_b32_e32 v1, 4, v11
	v_and_b32_e32 v1, 12, v1
	v_or_b32_e32 v10, 0x100, v0
	v_add_u32_e32 v13, v1, v9
	v_lshrrev_b32_e32 v1, 4, v10
	v_and_b32_e32 v1, 20, v1
	v_or_b32_e32 v8, 0x180, v0
	v_add_u32_e32 v14, v1, v9
	v_lshrrev_b32_e32 v1, 4, v8
	v_and_b32_e32 v1, 28, v1
	v_or_b32_e32 v6, 0x200, v0
	v_add_u32_e32 v15, v1, v9
	v_lshrrev_b32_e32 v1, 4, v6
	v_and_b32_e32 v1, 36, v1
	v_or_b32_e32 v5, 0x280, v0
	v_add_u32_e32 v16, v1, v9
	v_lshrrev_b32_e32 v1, 4, v5
	v_and_b32_e32 v1, 44, v1
	v_or_b32_e32 v4, 0x300, v0
	s_mov_b32 s23, 0
	v_add_u32_e32 v17, v1, v9
	v_lshrrev_b32_e32 v1, 4, v4
	s_lshl_b64 s[0:1], s[22:23], 1
	v_and_b32_e32 v1, 52, v1
	v_or_b32_e32 v3, 0x380, v0
	s_add_u32 s0, s14, s0
	v_add_u32_e32 v18, v1, v9
	v_lshrrev_b32_e32 v1, 4, v3
	s_addc_u32 s1, s15, s1
	v_and_b32_e32 v1, 60, v1
	v_add_u32_e32 v19, v1, v9
	v_mov_b32_e32 v2, s1
	v_add_co_u32_e32 v1, vcc, s0, v9
	v_addc_co_u32_e32 v2, vcc, 0, v2, vcc
	s_and_b64 vcc, exec, s[24:25]
	s_waitcnt lgkmcnt(0)
	s_cbranch_vccz .LBB8_93
; %bb.92:
	s_barrier
	ds_read_u16 v9, v12
	ds_read_u16 v20, v13 offset:256
	ds_read_u16 v21, v14 offset:512
	;; [unrolled: 1-line block ×7, first 2 shown]
	s_waitcnt lgkmcnt(7)
	global_store_short v[1:2], v9, off
	s_waitcnt lgkmcnt(6)
	global_store_short v[1:2], v20, off offset:256
	s_waitcnt lgkmcnt(5)
	global_store_short v[1:2], v21, off offset:512
	;; [unrolled: 2-line block ×6, first 2 shown]
	s_mov_b64 s[0:1], -1
	s_cbranch_execz .LBB8_94
	s_branch .LBB8_103
.LBB8_93:
	s_mov_b64 s[0:1], 0
                                        ; implicit-def: $vgpr7
.LBB8_94:
	s_waitcnt vmcnt(0) lgkmcnt(0)
	s_barrier
	ds_read_u16 v21, v13 offset:256
	ds_read_u16 v20, v14 offset:512
	;; [unrolled: 1-line block ×7, first 2 shown]
	s_sub_i32 s2, s20, s22
	v_cmp_gt_u32_e32 vcc, s2, v0
	s_and_saveexec_b64 s[0:1], vcc
	s_cbranch_execnz .LBB8_106
; %bb.95:
	s_or_b64 exec, exec, s[0:1]
	v_cmp_gt_u32_e32 vcc, s2, v11
	s_and_saveexec_b64 s[0:1], vcc
	s_cbranch_execnz .LBB8_107
.LBB8_96:
	s_or_b64 exec, exec, s[0:1]
	v_cmp_gt_u32_e32 vcc, s2, v10
	s_and_saveexec_b64 s[0:1], vcc
	s_cbranch_execnz .LBB8_108
.LBB8_97:
	s_or_b64 exec, exec, s[0:1]
	v_cmp_gt_u32_e32 vcc, s2, v8
	s_and_saveexec_b64 s[0:1], vcc
	s_cbranch_execnz .LBB8_109
.LBB8_98:
	s_or_b64 exec, exec, s[0:1]
	v_cmp_gt_u32_e32 vcc, s2, v6
	s_and_saveexec_b64 s[0:1], vcc
	s_cbranch_execnz .LBB8_110
.LBB8_99:
	s_or_b64 exec, exec, s[0:1]
	v_cmp_gt_u32_e32 vcc, s2, v5
	s_and_saveexec_b64 s[0:1], vcc
	s_cbranch_execnz .LBB8_111
.LBB8_100:
	s_or_b64 exec, exec, s[0:1]
	v_cmp_gt_u32_e32 vcc, s2, v4
	s_and_saveexec_b64 s[0:1], vcc
	s_cbranch_execz .LBB8_102
.LBB8_101:
	s_waitcnt lgkmcnt(1)
	global_store_short v[1:2], v9, off offset:1536
.LBB8_102:
	s_or_b64 exec, exec, s[0:1]
	v_cmp_gt_u32_e64 s[0:1], s2, v3
.LBB8_103:
	s_and_saveexec_b64 s[2:3], s[0:1]
	s_cbranch_execz .LBB8_105
; %bb.104:
	s_waitcnt lgkmcnt(0)
	global_store_short v[1:2], v7, off offset:1792
.LBB8_105:
	s_endpgm
.LBB8_106:
	ds_read_u16 v0, v12
	s_waitcnt lgkmcnt(0)
	global_store_short v[1:2], v0, off
	s_or_b64 exec, exec, s[0:1]
	v_cmp_gt_u32_e32 vcc, s2, v11
	s_and_saveexec_b64 s[0:1], vcc
	s_cbranch_execz .LBB8_96
.LBB8_107:
	s_waitcnt lgkmcnt(6)
	global_store_short v[1:2], v21, off offset:256
	s_or_b64 exec, exec, s[0:1]
	v_cmp_gt_u32_e32 vcc, s2, v10
	s_and_saveexec_b64 s[0:1], vcc
	s_cbranch_execz .LBB8_97
.LBB8_108:
	s_waitcnt lgkmcnt(5)
	global_store_short v[1:2], v20, off offset:512
	s_or_b64 exec, exec, s[0:1]
	v_cmp_gt_u32_e32 vcc, s2, v8
	s_and_saveexec_b64 s[0:1], vcc
	s_cbranch_execz .LBB8_98
.LBB8_109:
	s_waitcnt lgkmcnt(4)
	global_store_short v[1:2], v15, off offset:768
	s_or_b64 exec, exec, s[0:1]
	v_cmp_gt_u32_e32 vcc, s2, v6
	s_and_saveexec_b64 s[0:1], vcc
	s_cbranch_execz .LBB8_99
.LBB8_110:
	s_waitcnt lgkmcnt(3)
	global_store_short v[1:2], v14, off offset:1024
	s_or_b64 exec, exec, s[0:1]
	v_cmp_gt_u32_e32 vcc, s2, v5
	s_and_saveexec_b64 s[0:1], vcc
	s_cbranch_execz .LBB8_100
.LBB8_111:
	s_waitcnt lgkmcnt(2)
	global_store_short v[1:2], v13, off offset:1280
	s_or_b64 exec, exec, s[0:1]
	v_cmp_gt_u32_e32 vcc, s2, v4
	s_and_saveexec_b64 s[0:1], vcc
	s_cbranch_execnz .LBB8_101
	s_branch .LBB8_102
	.section	.rodata,"a",@progbits
	.p2align	6, 0x0
	.amdhsa_kernel _ZN7rocprim17ROCPRIM_304000_NS6detail35device_block_merge_mergepath_kernelINS1_37wrapped_merge_sort_block_merge_configINS0_14default_configEtN2at4cuda3cub6detail10OpaqueTypeILi8EEEEEPtSC_PSA_SD_jNS1_19radix_merge_compareILb1ELb1EtNS0_19identity_decomposerEEEEEvT0_T1_T2_T3_T4_SL_jT5_PKSL_NS1_7vsmem_tE
		.amdhsa_group_segment_fixed_size 8208
		.amdhsa_private_segment_fixed_size 0
		.amdhsa_kernarg_size 320
		.amdhsa_user_sgpr_count 6
		.amdhsa_user_sgpr_private_segment_buffer 1
		.amdhsa_user_sgpr_dispatch_ptr 0
		.amdhsa_user_sgpr_queue_ptr 0
		.amdhsa_user_sgpr_kernarg_segment_ptr 1
		.amdhsa_user_sgpr_dispatch_id 0
		.amdhsa_user_sgpr_flat_scratch_init 0
		.amdhsa_user_sgpr_private_segment_size 0
		.amdhsa_uses_dynamic_stack 0
		.amdhsa_system_sgpr_private_segment_wavefront_offset 0
		.amdhsa_system_sgpr_workgroup_id_x 1
		.amdhsa_system_sgpr_workgroup_id_y 1
		.amdhsa_system_sgpr_workgroup_id_z 1
		.amdhsa_system_sgpr_workgroup_info 0
		.amdhsa_system_vgpr_workitem_id 0
		.amdhsa_next_free_vgpr 49
		.amdhsa_next_free_sgpr 98
		.amdhsa_reserve_vcc 1
		.amdhsa_reserve_flat_scratch 0
		.amdhsa_float_round_mode_32 0
		.amdhsa_float_round_mode_16_64 0
		.amdhsa_float_denorm_mode_32 3
		.amdhsa_float_denorm_mode_16_64 3
		.amdhsa_dx10_clamp 1
		.amdhsa_ieee_mode 1
		.amdhsa_fp16_overflow 0
		.amdhsa_exception_fp_ieee_invalid_op 0
		.amdhsa_exception_fp_denorm_src 0
		.amdhsa_exception_fp_ieee_div_zero 0
		.amdhsa_exception_fp_ieee_overflow 0
		.amdhsa_exception_fp_ieee_underflow 0
		.amdhsa_exception_fp_ieee_inexact 0
		.amdhsa_exception_int_div_zero 0
	.end_amdhsa_kernel
	.section	.text._ZN7rocprim17ROCPRIM_304000_NS6detail35device_block_merge_mergepath_kernelINS1_37wrapped_merge_sort_block_merge_configINS0_14default_configEtN2at4cuda3cub6detail10OpaqueTypeILi8EEEEEPtSC_PSA_SD_jNS1_19radix_merge_compareILb1ELb1EtNS0_19identity_decomposerEEEEEvT0_T1_T2_T3_T4_SL_jT5_PKSL_NS1_7vsmem_tE,"axG",@progbits,_ZN7rocprim17ROCPRIM_304000_NS6detail35device_block_merge_mergepath_kernelINS1_37wrapped_merge_sort_block_merge_configINS0_14default_configEtN2at4cuda3cub6detail10OpaqueTypeILi8EEEEEPtSC_PSA_SD_jNS1_19radix_merge_compareILb1ELb1EtNS0_19identity_decomposerEEEEEvT0_T1_T2_T3_T4_SL_jT5_PKSL_NS1_7vsmem_tE,comdat
.Lfunc_end8:
	.size	_ZN7rocprim17ROCPRIM_304000_NS6detail35device_block_merge_mergepath_kernelINS1_37wrapped_merge_sort_block_merge_configINS0_14default_configEtN2at4cuda3cub6detail10OpaqueTypeILi8EEEEEPtSC_PSA_SD_jNS1_19radix_merge_compareILb1ELb1EtNS0_19identity_decomposerEEEEEvT0_T1_T2_T3_T4_SL_jT5_PKSL_NS1_7vsmem_tE, .Lfunc_end8-_ZN7rocprim17ROCPRIM_304000_NS6detail35device_block_merge_mergepath_kernelINS1_37wrapped_merge_sort_block_merge_configINS0_14default_configEtN2at4cuda3cub6detail10OpaqueTypeILi8EEEEEPtSC_PSA_SD_jNS1_19radix_merge_compareILb1ELb1EtNS0_19identity_decomposerEEEEEvT0_T1_T2_T3_T4_SL_jT5_PKSL_NS1_7vsmem_tE
                                        ; -- End function
	.set _ZN7rocprim17ROCPRIM_304000_NS6detail35device_block_merge_mergepath_kernelINS1_37wrapped_merge_sort_block_merge_configINS0_14default_configEtN2at4cuda3cub6detail10OpaqueTypeILi8EEEEEPtSC_PSA_SD_jNS1_19radix_merge_compareILb1ELb1EtNS0_19identity_decomposerEEEEEvT0_T1_T2_T3_T4_SL_jT5_PKSL_NS1_7vsmem_tE.num_vgpr, 34
	.set _ZN7rocprim17ROCPRIM_304000_NS6detail35device_block_merge_mergepath_kernelINS1_37wrapped_merge_sort_block_merge_configINS0_14default_configEtN2at4cuda3cub6detail10OpaqueTypeILi8EEEEEPtSC_PSA_SD_jNS1_19radix_merge_compareILb1ELb1EtNS0_19identity_decomposerEEEEEvT0_T1_T2_T3_T4_SL_jT5_PKSL_NS1_7vsmem_tE.num_agpr, 0
	.set _ZN7rocprim17ROCPRIM_304000_NS6detail35device_block_merge_mergepath_kernelINS1_37wrapped_merge_sort_block_merge_configINS0_14default_configEtN2at4cuda3cub6detail10OpaqueTypeILi8EEEEEPtSC_PSA_SD_jNS1_19radix_merge_compareILb1ELb1EtNS0_19identity_decomposerEEEEEvT0_T1_T2_T3_T4_SL_jT5_PKSL_NS1_7vsmem_tE.numbered_sgpr, 35
	.set _ZN7rocprim17ROCPRIM_304000_NS6detail35device_block_merge_mergepath_kernelINS1_37wrapped_merge_sort_block_merge_configINS0_14default_configEtN2at4cuda3cub6detail10OpaqueTypeILi8EEEEEPtSC_PSA_SD_jNS1_19radix_merge_compareILb1ELb1EtNS0_19identity_decomposerEEEEEvT0_T1_T2_T3_T4_SL_jT5_PKSL_NS1_7vsmem_tE.num_named_barrier, 0
	.set _ZN7rocprim17ROCPRIM_304000_NS6detail35device_block_merge_mergepath_kernelINS1_37wrapped_merge_sort_block_merge_configINS0_14default_configEtN2at4cuda3cub6detail10OpaqueTypeILi8EEEEEPtSC_PSA_SD_jNS1_19radix_merge_compareILb1ELb1EtNS0_19identity_decomposerEEEEEvT0_T1_T2_T3_T4_SL_jT5_PKSL_NS1_7vsmem_tE.private_seg_size, 0
	.set _ZN7rocprim17ROCPRIM_304000_NS6detail35device_block_merge_mergepath_kernelINS1_37wrapped_merge_sort_block_merge_configINS0_14default_configEtN2at4cuda3cub6detail10OpaqueTypeILi8EEEEEPtSC_PSA_SD_jNS1_19radix_merge_compareILb1ELb1EtNS0_19identity_decomposerEEEEEvT0_T1_T2_T3_T4_SL_jT5_PKSL_NS1_7vsmem_tE.uses_vcc, 1
	.set _ZN7rocprim17ROCPRIM_304000_NS6detail35device_block_merge_mergepath_kernelINS1_37wrapped_merge_sort_block_merge_configINS0_14default_configEtN2at4cuda3cub6detail10OpaqueTypeILi8EEEEEPtSC_PSA_SD_jNS1_19radix_merge_compareILb1ELb1EtNS0_19identity_decomposerEEEEEvT0_T1_T2_T3_T4_SL_jT5_PKSL_NS1_7vsmem_tE.uses_flat_scratch, 0
	.set _ZN7rocprim17ROCPRIM_304000_NS6detail35device_block_merge_mergepath_kernelINS1_37wrapped_merge_sort_block_merge_configINS0_14default_configEtN2at4cuda3cub6detail10OpaqueTypeILi8EEEEEPtSC_PSA_SD_jNS1_19radix_merge_compareILb1ELb1EtNS0_19identity_decomposerEEEEEvT0_T1_T2_T3_T4_SL_jT5_PKSL_NS1_7vsmem_tE.has_dyn_sized_stack, 0
	.set _ZN7rocprim17ROCPRIM_304000_NS6detail35device_block_merge_mergepath_kernelINS1_37wrapped_merge_sort_block_merge_configINS0_14default_configEtN2at4cuda3cub6detail10OpaqueTypeILi8EEEEEPtSC_PSA_SD_jNS1_19radix_merge_compareILb1ELb1EtNS0_19identity_decomposerEEEEEvT0_T1_T2_T3_T4_SL_jT5_PKSL_NS1_7vsmem_tE.has_recursion, 0
	.set _ZN7rocprim17ROCPRIM_304000_NS6detail35device_block_merge_mergepath_kernelINS1_37wrapped_merge_sort_block_merge_configINS0_14default_configEtN2at4cuda3cub6detail10OpaqueTypeILi8EEEEEPtSC_PSA_SD_jNS1_19radix_merge_compareILb1ELb1EtNS0_19identity_decomposerEEEEEvT0_T1_T2_T3_T4_SL_jT5_PKSL_NS1_7vsmem_tE.has_indirect_call, 0
	.section	.AMDGPU.csdata,"",@progbits
; Kernel info:
; codeLenInByte = 6168
; TotalNumSgprs: 39
; NumVgprs: 34
; ScratchSize: 0
; MemoryBound: 0
; FloatMode: 240
; IeeeMode: 1
; LDSByteSize: 8208 bytes/workgroup (compile time only)
; SGPRBlocks: 12
; VGPRBlocks: 12
; NumSGPRsForWavesPerEU: 102
; NumVGPRsForWavesPerEU: 49
; Occupancy: 4
; WaveLimiterHint : 1
; COMPUTE_PGM_RSRC2:SCRATCH_EN: 0
; COMPUTE_PGM_RSRC2:USER_SGPR: 6
; COMPUTE_PGM_RSRC2:TRAP_HANDLER: 0
; COMPUTE_PGM_RSRC2:TGID_X_EN: 1
; COMPUTE_PGM_RSRC2:TGID_Y_EN: 1
; COMPUTE_PGM_RSRC2:TGID_Z_EN: 1
; COMPUTE_PGM_RSRC2:TIDIG_COMP_CNT: 0
	.section	.text._ZN7rocprim17ROCPRIM_304000_NS6detail33device_block_merge_oddeven_kernelINS1_37wrapped_merge_sort_block_merge_configINS0_14default_configEtN2at4cuda3cub6detail10OpaqueTypeILi8EEEEEPtSC_PSA_SD_jNS1_19radix_merge_compareILb1ELb1EtNS0_19identity_decomposerEEEEEvT0_T1_T2_T3_T4_SL_T5_,"axG",@progbits,_ZN7rocprim17ROCPRIM_304000_NS6detail33device_block_merge_oddeven_kernelINS1_37wrapped_merge_sort_block_merge_configINS0_14default_configEtN2at4cuda3cub6detail10OpaqueTypeILi8EEEEEPtSC_PSA_SD_jNS1_19radix_merge_compareILb1ELb1EtNS0_19identity_decomposerEEEEEvT0_T1_T2_T3_T4_SL_T5_,comdat
	.protected	_ZN7rocprim17ROCPRIM_304000_NS6detail33device_block_merge_oddeven_kernelINS1_37wrapped_merge_sort_block_merge_configINS0_14default_configEtN2at4cuda3cub6detail10OpaqueTypeILi8EEEEEPtSC_PSA_SD_jNS1_19radix_merge_compareILb1ELb1EtNS0_19identity_decomposerEEEEEvT0_T1_T2_T3_T4_SL_T5_ ; -- Begin function _ZN7rocprim17ROCPRIM_304000_NS6detail33device_block_merge_oddeven_kernelINS1_37wrapped_merge_sort_block_merge_configINS0_14default_configEtN2at4cuda3cub6detail10OpaqueTypeILi8EEEEEPtSC_PSA_SD_jNS1_19radix_merge_compareILb1ELb1EtNS0_19identity_decomposerEEEEEvT0_T1_T2_T3_T4_SL_T5_
	.globl	_ZN7rocprim17ROCPRIM_304000_NS6detail33device_block_merge_oddeven_kernelINS1_37wrapped_merge_sort_block_merge_configINS0_14default_configEtN2at4cuda3cub6detail10OpaqueTypeILi8EEEEEPtSC_PSA_SD_jNS1_19radix_merge_compareILb1ELb1EtNS0_19identity_decomposerEEEEEvT0_T1_T2_T3_T4_SL_T5_
	.p2align	8
	.type	_ZN7rocprim17ROCPRIM_304000_NS6detail33device_block_merge_oddeven_kernelINS1_37wrapped_merge_sort_block_merge_configINS0_14default_configEtN2at4cuda3cub6detail10OpaqueTypeILi8EEEEEPtSC_PSA_SD_jNS1_19radix_merge_compareILb1ELb1EtNS0_19identity_decomposerEEEEEvT0_T1_T2_T3_T4_SL_T5_,@function
_ZN7rocprim17ROCPRIM_304000_NS6detail33device_block_merge_oddeven_kernelINS1_37wrapped_merge_sort_block_merge_configINS0_14default_configEtN2at4cuda3cub6detail10OpaqueTypeILi8EEEEEPtSC_PSA_SD_jNS1_19radix_merge_compareILb1ELb1EtNS0_19identity_decomposerEEEEEvT0_T1_T2_T3_T4_SL_T5_: ; @_ZN7rocprim17ROCPRIM_304000_NS6detail33device_block_merge_oddeven_kernelINS1_37wrapped_merge_sort_block_merge_configINS0_14default_configEtN2at4cuda3cub6detail10OpaqueTypeILi8EEEEEPtSC_PSA_SD_jNS1_19radix_merge_compareILb1ELb1EtNS0_19identity_decomposerEEEEEvT0_T1_T2_T3_T4_SL_T5_
; %bb.0:
	s_load_dwordx4 s[16:19], s[4:5], 0x20
	s_waitcnt lgkmcnt(0)
	s_lshr_b32 s0, s16, 8
	s_cmp_eq_u32 s6, s0
	s_cselect_b64 s[20:21], -1, 0
	s_cmp_lg_u32 s6, s0
	s_cselect_b64 s[0:1], -1, 0
	s_lshl_b32 s22, s6, 8
	s_sub_i32 s2, s16, s22
	v_cmp_gt_u32_e64 s[2:3], s2, v0
	s_or_b64 s[0:1], s[0:1], s[2:3]
	s_and_saveexec_b64 s[8:9], s[0:1]
	s_cbranch_execz .LBB9_24
; %bb.1:
	s_load_dwordx8 s[8:15], s[4:5], 0x0
	s_mov_b32 s23, 0
	s_lshl_b64 s[0:1], s[22:23], 1
	v_lshlrev_b32_e32 v4, 3, v0
	v_lshlrev_b32_e32 v3, 1, v0
	s_waitcnt lgkmcnt(0)
	s_add_u32 s0, s8, s0
	s_addc_u32 s1, s9, s1
	s_lshl_b64 s[4:5], s[22:23], 3
	s_add_u32 s4, s12, s4
	s_addc_u32 s5, s13, s5
	global_load_dwordx2 v[1:2], v4, s[4:5]
	global_load_ushort v5, v3, s[0:1]
	s_lshr_b32 s0, s17, 8
	s_sub_i32 s1, 0, s0
	s_and_b32 s1, s6, s1
	s_and_b32 s0, s1, s0
	s_lshl_b32 s13, s1, 8
	s_sub_i32 s6, 0, s17
	s_cmp_eq_u32 s0, 0
	s_cselect_b64 s[0:1], -1, 0
	s_and_b64 s[4:5], s[0:1], exec
	s_cselect_b32 s6, s17, s6
	s_add_i32 s6, s6, s13
	s_mov_b64 s[4:5], -1
	s_cmp_gt_u32 s16, s6
	v_add_u32_e32 v3, s22, v0
	s_cbranch_scc1 .LBB9_9
; %bb.2:
	s_and_b64 vcc, exec, s[20:21]
	s_cbranch_vccz .LBB9_6
; %bb.3:
	v_cmp_gt_u32_e32 vcc, s16, v3
	s_and_saveexec_b64 s[4:5], vcc
	s_cbranch_execz .LBB9_5
; %bb.4:
	v_mov_b32_e32 v4, 0
	v_lshlrev_b64 v[6:7], 3, v[3:4]
	v_mov_b32_e32 v0, s15
	v_add_co_u32_e32 v6, vcc, s14, v6
	v_lshlrev_b64 v[8:9], 1, v[3:4]
	v_addc_co_u32_e32 v7, vcc, v0, v7, vcc
	v_mov_b32_e32 v0, s11
	v_add_co_u32_e32 v8, vcc, s10, v8
	v_addc_co_u32_e32 v9, vcc, v0, v9, vcc
	s_waitcnt vmcnt(0)
	global_store_short v[8:9], v5, off
	global_store_dwordx2 v[6:7], v[1:2], off
.LBB9_5:
	s_or_b64 exec, exec, s[4:5]
	s_mov_b64 s[4:5], 0
.LBB9_6:
	s_andn2_b64 vcc, exec, s[4:5]
	s_cbranch_vccnz .LBB9_8
; %bb.7:
	v_mov_b32_e32 v4, 0
	v_lshlrev_b64 v[6:7], 1, v[3:4]
	v_mov_b32_e32 v0, s11
	v_add_co_u32_e32 v6, vcc, s10, v6
	v_lshlrev_b64 v[8:9], 3, v[3:4]
	v_addc_co_u32_e32 v7, vcc, v0, v7, vcc
	v_mov_b32_e32 v0, s15
	v_add_co_u32_e32 v8, vcc, s14, v8
	v_addc_co_u32_e32 v9, vcc, v0, v9, vcc
	s_waitcnt vmcnt(0)
	global_store_short v[6:7], v5, off
	global_store_dwordx2 v[8:9], v[1:2], off
.LBB9_8:
	s_mov_b64 s[4:5], 0
.LBB9_9:
	s_andn2_b64 vcc, exec, s[4:5]
	s_cbranch_vccnz .LBB9_24
; %bb.10:
	s_min_u32 s7, s6, s16
	s_add_i32 s4, s7, s17
	s_min_u32 s12, s4, s16
	s_min_u32 s4, s13, s7
	s_add_i32 s13, s13, s7
	v_subrev_u32_e32 v0, s13, v3
	v_add_u32_e32 v0, s4, v0
	s_waitcnt vmcnt(0)
	v_and_b32_e32 v3, s18, v5
	s_mov_b64 s[4:5], -1
	s_and_b64 vcc, exec, s[20:21]
	s_cbranch_vccz .LBB9_18
; %bb.11:
	s_and_saveexec_b64 s[4:5], s[2:3]
	s_cbranch_execz .LBB9_17
; %bb.12:
	s_cmp_ge_u32 s6, s12
	v_mov_b32_e32 v4, s7
	s_cbranch_scc1 .LBB9_16
; %bb.13:
	s_mov_b64 s[2:3], 0
	v_mov_b32_e32 v6, s12
	v_mov_b32_e32 v4, s7
.LBB9_14:                               ; =>This Inner Loop Header: Depth=1
	v_add_u32_e32 v7, v4, v6
	v_and_b32_e32 v8, -2, v7
	global_load_ushort v8, v8, s[8:9]
	v_lshrrev_b32_e32 v7, 1, v7
	v_add_u32_e32 v9, 1, v7
	s_waitcnt vmcnt(0)
	v_and_b32_e32 v8, s18, v8
	v_cmp_gt_u16_e32 vcc, v8, v3
	v_cndmask_b32_e64 v10, 0, 1, vcc
	v_cmp_le_u16_e32 vcc, v3, v8
	v_cndmask_b32_e64 v8, 0, 1, vcc
	v_cndmask_b32_e64 v8, v8, v10, s[0:1]
	v_and_b32_e32 v8, 1, v8
	v_cmp_eq_u32_e32 vcc, 1, v8
	v_cndmask_b32_e32 v6, v7, v6, vcc
	v_cndmask_b32_e32 v4, v4, v9, vcc
	v_cmp_ge_u32_e32 vcc, v4, v6
	s_or_b64 s[2:3], vcc, s[2:3]
	s_andn2_b64 exec, exec, s[2:3]
	s_cbranch_execnz .LBB9_14
; %bb.15:
	s_or_b64 exec, exec, s[2:3]
.LBB9_16:
	v_add_u32_e32 v6, v4, v0
	v_mov_b32_e32 v7, 0
	v_lshlrev_b64 v[8:9], 1, v[6:7]
	v_mov_b32_e32 v4, s11
	v_add_co_u32_e32 v8, vcc, s10, v8
	v_lshlrev_b64 v[6:7], 3, v[6:7]
	v_addc_co_u32_e32 v9, vcc, v4, v9, vcc
	v_mov_b32_e32 v4, s15
	v_add_co_u32_e32 v6, vcc, s14, v6
	v_addc_co_u32_e32 v7, vcc, v4, v7, vcc
	global_store_short v[8:9], v5, off
	global_store_dwordx2 v[6:7], v[1:2], off
.LBB9_17:
	s_or_b64 exec, exec, s[4:5]
	s_mov_b64 s[4:5], 0
.LBB9_18:
	s_andn2_b64 vcc, exec, s[4:5]
	s_cbranch_vccnz .LBB9_24
; %bb.19:
	s_cmp_ge_u32 s6, s12
	v_mov_b32_e32 v4, s7
	s_cbranch_scc1 .LBB9_23
; %bb.20:
	s_mov_b64 s[2:3], 0
	v_mov_b32_e32 v6, s12
	v_mov_b32_e32 v4, s7
.LBB9_21:                               ; =>This Inner Loop Header: Depth=1
	v_add_u32_e32 v7, v4, v6
	v_and_b32_e32 v8, -2, v7
	global_load_ushort v8, v8, s[8:9]
	v_lshrrev_b32_e32 v7, 1, v7
	v_add_u32_e32 v9, 1, v7
	s_waitcnt vmcnt(0)
	v_and_b32_e32 v8, s18, v8
	v_cmp_gt_u16_e32 vcc, v8, v3
	v_cndmask_b32_e64 v10, 0, 1, vcc
	v_cmp_le_u16_e32 vcc, v3, v8
	v_cndmask_b32_e64 v8, 0, 1, vcc
	v_cndmask_b32_e64 v8, v8, v10, s[0:1]
	v_and_b32_e32 v8, 1, v8
	v_cmp_eq_u32_e32 vcc, 1, v8
	v_cndmask_b32_e32 v6, v7, v6, vcc
	v_cndmask_b32_e32 v4, v4, v9, vcc
	v_cmp_ge_u32_e32 vcc, v4, v6
	s_or_b64 s[2:3], vcc, s[2:3]
	s_andn2_b64 exec, exec, s[2:3]
	s_cbranch_execnz .LBB9_21
; %bb.22:
	s_or_b64 exec, exec, s[2:3]
.LBB9_23:
	v_add_u32_e32 v3, v4, v0
	v_mov_b32_e32 v4, 0
	v_lshlrev_b64 v[6:7], 1, v[3:4]
	v_mov_b32_e32 v0, s11
	v_add_co_u32_e32 v6, vcc, s10, v6
	v_lshlrev_b64 v[3:4], 3, v[3:4]
	v_addc_co_u32_e32 v7, vcc, v0, v7, vcc
	v_mov_b32_e32 v0, s15
	v_add_co_u32_e32 v3, vcc, s14, v3
	v_addc_co_u32_e32 v4, vcc, v0, v4, vcc
	global_store_short v[6:7], v5, off
	global_store_dwordx2 v[3:4], v[1:2], off
.LBB9_24:
	s_endpgm
	.section	.rodata,"a",@progbits
	.p2align	6, 0x0
	.amdhsa_kernel _ZN7rocprim17ROCPRIM_304000_NS6detail33device_block_merge_oddeven_kernelINS1_37wrapped_merge_sort_block_merge_configINS0_14default_configEtN2at4cuda3cub6detail10OpaqueTypeILi8EEEEEPtSC_PSA_SD_jNS1_19radix_merge_compareILb1ELb1EtNS0_19identity_decomposerEEEEEvT0_T1_T2_T3_T4_SL_T5_
		.amdhsa_group_segment_fixed_size 0
		.amdhsa_private_segment_fixed_size 0
		.amdhsa_kernarg_size 44
		.amdhsa_user_sgpr_count 6
		.amdhsa_user_sgpr_private_segment_buffer 1
		.amdhsa_user_sgpr_dispatch_ptr 0
		.amdhsa_user_sgpr_queue_ptr 0
		.amdhsa_user_sgpr_kernarg_segment_ptr 1
		.amdhsa_user_sgpr_dispatch_id 0
		.amdhsa_user_sgpr_flat_scratch_init 0
		.amdhsa_user_sgpr_private_segment_size 0
		.amdhsa_uses_dynamic_stack 0
		.amdhsa_system_sgpr_private_segment_wavefront_offset 0
		.amdhsa_system_sgpr_workgroup_id_x 1
		.amdhsa_system_sgpr_workgroup_id_y 0
		.amdhsa_system_sgpr_workgroup_id_z 0
		.amdhsa_system_sgpr_workgroup_info 0
		.amdhsa_system_vgpr_workitem_id 0
		.amdhsa_next_free_vgpr 11
		.amdhsa_next_free_sgpr 24
		.amdhsa_reserve_vcc 1
		.amdhsa_reserve_flat_scratch 0
		.amdhsa_float_round_mode_32 0
		.amdhsa_float_round_mode_16_64 0
		.amdhsa_float_denorm_mode_32 3
		.amdhsa_float_denorm_mode_16_64 3
		.amdhsa_dx10_clamp 1
		.amdhsa_ieee_mode 1
		.amdhsa_fp16_overflow 0
		.amdhsa_exception_fp_ieee_invalid_op 0
		.amdhsa_exception_fp_denorm_src 0
		.amdhsa_exception_fp_ieee_div_zero 0
		.amdhsa_exception_fp_ieee_overflow 0
		.amdhsa_exception_fp_ieee_underflow 0
		.amdhsa_exception_fp_ieee_inexact 0
		.amdhsa_exception_int_div_zero 0
	.end_amdhsa_kernel
	.section	.text._ZN7rocprim17ROCPRIM_304000_NS6detail33device_block_merge_oddeven_kernelINS1_37wrapped_merge_sort_block_merge_configINS0_14default_configEtN2at4cuda3cub6detail10OpaqueTypeILi8EEEEEPtSC_PSA_SD_jNS1_19radix_merge_compareILb1ELb1EtNS0_19identity_decomposerEEEEEvT0_T1_T2_T3_T4_SL_T5_,"axG",@progbits,_ZN7rocprim17ROCPRIM_304000_NS6detail33device_block_merge_oddeven_kernelINS1_37wrapped_merge_sort_block_merge_configINS0_14default_configEtN2at4cuda3cub6detail10OpaqueTypeILi8EEEEEPtSC_PSA_SD_jNS1_19radix_merge_compareILb1ELb1EtNS0_19identity_decomposerEEEEEvT0_T1_T2_T3_T4_SL_T5_,comdat
.Lfunc_end9:
	.size	_ZN7rocprim17ROCPRIM_304000_NS6detail33device_block_merge_oddeven_kernelINS1_37wrapped_merge_sort_block_merge_configINS0_14default_configEtN2at4cuda3cub6detail10OpaqueTypeILi8EEEEEPtSC_PSA_SD_jNS1_19radix_merge_compareILb1ELb1EtNS0_19identity_decomposerEEEEEvT0_T1_T2_T3_T4_SL_T5_, .Lfunc_end9-_ZN7rocprim17ROCPRIM_304000_NS6detail33device_block_merge_oddeven_kernelINS1_37wrapped_merge_sort_block_merge_configINS0_14default_configEtN2at4cuda3cub6detail10OpaqueTypeILi8EEEEEPtSC_PSA_SD_jNS1_19radix_merge_compareILb1ELb1EtNS0_19identity_decomposerEEEEEvT0_T1_T2_T3_T4_SL_T5_
                                        ; -- End function
	.set _ZN7rocprim17ROCPRIM_304000_NS6detail33device_block_merge_oddeven_kernelINS1_37wrapped_merge_sort_block_merge_configINS0_14default_configEtN2at4cuda3cub6detail10OpaqueTypeILi8EEEEEPtSC_PSA_SD_jNS1_19radix_merge_compareILb1ELb1EtNS0_19identity_decomposerEEEEEvT0_T1_T2_T3_T4_SL_T5_.num_vgpr, 11
	.set _ZN7rocprim17ROCPRIM_304000_NS6detail33device_block_merge_oddeven_kernelINS1_37wrapped_merge_sort_block_merge_configINS0_14default_configEtN2at4cuda3cub6detail10OpaqueTypeILi8EEEEEPtSC_PSA_SD_jNS1_19radix_merge_compareILb1ELb1EtNS0_19identity_decomposerEEEEEvT0_T1_T2_T3_T4_SL_T5_.num_agpr, 0
	.set _ZN7rocprim17ROCPRIM_304000_NS6detail33device_block_merge_oddeven_kernelINS1_37wrapped_merge_sort_block_merge_configINS0_14default_configEtN2at4cuda3cub6detail10OpaqueTypeILi8EEEEEPtSC_PSA_SD_jNS1_19radix_merge_compareILb1ELb1EtNS0_19identity_decomposerEEEEEvT0_T1_T2_T3_T4_SL_T5_.numbered_sgpr, 24
	.set _ZN7rocprim17ROCPRIM_304000_NS6detail33device_block_merge_oddeven_kernelINS1_37wrapped_merge_sort_block_merge_configINS0_14default_configEtN2at4cuda3cub6detail10OpaqueTypeILi8EEEEEPtSC_PSA_SD_jNS1_19radix_merge_compareILb1ELb1EtNS0_19identity_decomposerEEEEEvT0_T1_T2_T3_T4_SL_T5_.num_named_barrier, 0
	.set _ZN7rocprim17ROCPRIM_304000_NS6detail33device_block_merge_oddeven_kernelINS1_37wrapped_merge_sort_block_merge_configINS0_14default_configEtN2at4cuda3cub6detail10OpaqueTypeILi8EEEEEPtSC_PSA_SD_jNS1_19radix_merge_compareILb1ELb1EtNS0_19identity_decomposerEEEEEvT0_T1_T2_T3_T4_SL_T5_.private_seg_size, 0
	.set _ZN7rocprim17ROCPRIM_304000_NS6detail33device_block_merge_oddeven_kernelINS1_37wrapped_merge_sort_block_merge_configINS0_14default_configEtN2at4cuda3cub6detail10OpaqueTypeILi8EEEEEPtSC_PSA_SD_jNS1_19radix_merge_compareILb1ELb1EtNS0_19identity_decomposerEEEEEvT0_T1_T2_T3_T4_SL_T5_.uses_vcc, 1
	.set _ZN7rocprim17ROCPRIM_304000_NS6detail33device_block_merge_oddeven_kernelINS1_37wrapped_merge_sort_block_merge_configINS0_14default_configEtN2at4cuda3cub6detail10OpaqueTypeILi8EEEEEPtSC_PSA_SD_jNS1_19radix_merge_compareILb1ELb1EtNS0_19identity_decomposerEEEEEvT0_T1_T2_T3_T4_SL_T5_.uses_flat_scratch, 0
	.set _ZN7rocprim17ROCPRIM_304000_NS6detail33device_block_merge_oddeven_kernelINS1_37wrapped_merge_sort_block_merge_configINS0_14default_configEtN2at4cuda3cub6detail10OpaqueTypeILi8EEEEEPtSC_PSA_SD_jNS1_19radix_merge_compareILb1ELb1EtNS0_19identity_decomposerEEEEEvT0_T1_T2_T3_T4_SL_T5_.has_dyn_sized_stack, 0
	.set _ZN7rocprim17ROCPRIM_304000_NS6detail33device_block_merge_oddeven_kernelINS1_37wrapped_merge_sort_block_merge_configINS0_14default_configEtN2at4cuda3cub6detail10OpaqueTypeILi8EEEEEPtSC_PSA_SD_jNS1_19radix_merge_compareILb1ELb1EtNS0_19identity_decomposerEEEEEvT0_T1_T2_T3_T4_SL_T5_.has_recursion, 0
	.set _ZN7rocprim17ROCPRIM_304000_NS6detail33device_block_merge_oddeven_kernelINS1_37wrapped_merge_sort_block_merge_configINS0_14default_configEtN2at4cuda3cub6detail10OpaqueTypeILi8EEEEEPtSC_PSA_SD_jNS1_19radix_merge_compareILb1ELb1EtNS0_19identity_decomposerEEEEEvT0_T1_T2_T3_T4_SL_T5_.has_indirect_call, 0
	.section	.AMDGPU.csdata,"",@progbits
; Kernel info:
; codeLenInByte = 812
; TotalNumSgprs: 28
; NumVgprs: 11
; ScratchSize: 0
; MemoryBound: 0
; FloatMode: 240
; IeeeMode: 1
; LDSByteSize: 0 bytes/workgroup (compile time only)
; SGPRBlocks: 3
; VGPRBlocks: 2
; NumSGPRsForWavesPerEU: 28
; NumVGPRsForWavesPerEU: 11
; Occupancy: 10
; WaveLimiterHint : 0
; COMPUTE_PGM_RSRC2:SCRATCH_EN: 0
; COMPUTE_PGM_RSRC2:USER_SGPR: 6
; COMPUTE_PGM_RSRC2:TRAP_HANDLER: 0
; COMPUTE_PGM_RSRC2:TGID_X_EN: 1
; COMPUTE_PGM_RSRC2:TGID_Y_EN: 0
; COMPUTE_PGM_RSRC2:TGID_Z_EN: 0
; COMPUTE_PGM_RSRC2:TIDIG_COMP_CNT: 0
	.section	.text._ZN7rocprim17ROCPRIM_304000_NS6detail26onesweep_histograms_kernelINS1_34wrapped_radix_sort_onesweep_configINS0_14default_configEtN2at4cuda3cub6detail10OpaqueTypeILi8EEEEELb1EPKtmNS0_19identity_decomposerEEEvT1_PT2_SG_SG_T3_jj,"axG",@progbits,_ZN7rocprim17ROCPRIM_304000_NS6detail26onesweep_histograms_kernelINS1_34wrapped_radix_sort_onesweep_configINS0_14default_configEtN2at4cuda3cub6detail10OpaqueTypeILi8EEEEELb1EPKtmNS0_19identity_decomposerEEEvT1_PT2_SG_SG_T3_jj,comdat
	.protected	_ZN7rocprim17ROCPRIM_304000_NS6detail26onesweep_histograms_kernelINS1_34wrapped_radix_sort_onesweep_configINS0_14default_configEtN2at4cuda3cub6detail10OpaqueTypeILi8EEEEELb1EPKtmNS0_19identity_decomposerEEEvT1_PT2_SG_SG_T3_jj ; -- Begin function _ZN7rocprim17ROCPRIM_304000_NS6detail26onesweep_histograms_kernelINS1_34wrapped_radix_sort_onesweep_configINS0_14default_configEtN2at4cuda3cub6detail10OpaqueTypeILi8EEEEELb1EPKtmNS0_19identity_decomposerEEEvT1_PT2_SG_SG_T3_jj
	.globl	_ZN7rocprim17ROCPRIM_304000_NS6detail26onesweep_histograms_kernelINS1_34wrapped_radix_sort_onesweep_configINS0_14default_configEtN2at4cuda3cub6detail10OpaqueTypeILi8EEEEELb1EPKtmNS0_19identity_decomposerEEEvT1_PT2_SG_SG_T3_jj
	.p2align	8
	.type	_ZN7rocprim17ROCPRIM_304000_NS6detail26onesweep_histograms_kernelINS1_34wrapped_radix_sort_onesweep_configINS0_14default_configEtN2at4cuda3cub6detail10OpaqueTypeILi8EEEEELb1EPKtmNS0_19identity_decomposerEEEvT1_PT2_SG_SG_T3_jj,@function
_ZN7rocprim17ROCPRIM_304000_NS6detail26onesweep_histograms_kernelINS1_34wrapped_radix_sort_onesweep_configINS0_14default_configEtN2at4cuda3cub6detail10OpaqueTypeILi8EEEEELb1EPKtmNS0_19identity_decomposerEEEvT1_PT2_SG_SG_T3_jj: ; @_ZN7rocprim17ROCPRIM_304000_NS6detail26onesweep_histograms_kernelINS1_34wrapped_radix_sort_onesweep_configINS0_14default_configEtN2at4cuda3cub6detail10OpaqueTypeILi8EEEEELb1EPKtmNS0_19identity_decomposerEEEvT1_PT2_SG_SG_T3_jj
; %bb.0:
	s_load_dwordx8 s[24:31], s[4:5], 0x0
	s_load_dwordx2 s[34:35], s[4:5], 0x24
	v_mov_b32_e32 v1, 0
	v_mov_b32_e32 v2, s6
	;; [unrolled: 1-line block ×3, first 2 shown]
	s_waitcnt lgkmcnt(0)
	v_cmp_le_u64_e32 vcc, s[30:31], v[2:3]
	s_mul_hi_u32 s0, s6, 0x1800
	s_mulk_i32 s6, 0x1800
	s_add_u32 s24, s24, s6
	s_addc_u32 s25, s25, s0
	s_mov_b64 s[0:1], -1
	v_lshlrev_b32_e32 v11, 1, v0
	s_cbranch_vccz .LBB10_84
; %bb.1:
	s_mul_i32 s0, s30, 0xfffff400
	s_add_i32 s28, s0, s28
	v_mov_b32_e32 v2, s25
	v_add_co_u32_e32 v9, vcc, s24, v11
	v_addc_co_u32_e32 v10, vcc, 0, v2, vcc
	v_cmp_gt_u32_e64 s[22:23], s28, v0
	v_mov_b32_e32 v2, v1
	v_mov_b32_e32 v3, v1
	;; [unrolled: 1-line block ×5, first 2 shown]
	s_and_saveexec_b64 s[0:1], s[22:23]
	s_cbranch_execz .LBB10_3
; %bb.2:
	global_load_ushort v2, v[9:10], off
	v_mov_b32_e32 v3, v1
	v_mov_b32_e32 v4, v1
	v_mov_b32_e32 v5, v1
	v_mov_b32_e32 v6, v1
	v_mov_b32_e32 v7, v1
	s_waitcnt vmcnt(0)
	v_and_b32_e32 v2, 0xffff, v2
	v_mov_b32_e32 v1, v2
	v_mov_b32_e32 v2, v3
	;; [unrolled: 1-line block ×8, first 2 shown]
.LBB10_3:
	s_or_b64 exec, exec, s[0:1]
	v_or_b32_e32 v7, 0x100, v0
	v_cmp_gt_u32_e64 s[20:21], s28, v7
	s_and_saveexec_b64 s[0:1], s[20:21]
	s_cbranch_execz .LBB10_5
; %bb.4:
	global_load_ushort v7, v[9:10], off offset:512
	s_mov_b32 s2, 0x5040100
	s_waitcnt vmcnt(0)
	v_perm_b32 v1, v7, v1, s2
.LBB10_5:
	s_or_b64 exec, exec, s[0:1]
	v_or_b32_e32 v7, 0x200, v0
	v_cmp_gt_u32_e64 s[18:19], s28, v7
	s_and_saveexec_b64 s[0:1], s[18:19]
	s_cbranch_execz .LBB10_7
; %bb.6:
	global_load_ushort v7, v[9:10], off offset:1024
	s_mov_b32 s2, 0xffff
	s_waitcnt vmcnt(0)
	v_bfi_b32 v2, s2, v7, v2
.LBB10_7:
	s_or_b64 exec, exec, s[0:1]
	v_or_b32_e32 v7, 0x300, v0
	v_cmp_gt_u32_e64 s[16:17], s28, v7
	s_and_saveexec_b64 s[0:1], s[16:17]
	s_cbranch_execz .LBB10_9
; %bb.8:
	global_load_ushort v7, v[9:10], off offset:1536
	s_mov_b32 s2, 0x5040100
	s_waitcnt vmcnt(0)
	v_perm_b32 v2, v7, v2, s2
.LBB10_9:
	s_or_b64 exec, exec, s[0:1]
	v_or_b32_e32 v7, 0x400, v0
	v_cmp_gt_u32_e64 s[14:15], s28, v7
	s_and_saveexec_b64 s[0:1], s[14:15]
	s_cbranch_execz .LBB10_11
; %bb.10:
	global_load_ushort v8, v[9:10], off offset:2048
	s_mov_b32 s2, 0xffff
	s_waitcnt vmcnt(0)
	v_bfi_b32 v3, s2, v8, v3
.LBB10_11:
	;; [unrolled: 22-line block ×3, first 2 shown]
	s_or_b64 exec, exec, s[0:1]
	v_or_b32_e32 v8, 0x700, v0
	v_cmp_gt_u32_e64 s[8:9], s28, v8
	s_and_saveexec_b64 s[0:1], s[8:9]
	s_cbranch_execz .LBB10_17
; %bb.16:
	global_load_ushort v8, v[9:10], off offset:3584
	s_mov_b32 s2, 0x5040100
	s_waitcnt vmcnt(0)
	v_perm_b32 v4, v8, v4, s2
.LBB10_17:
	s_or_b64 exec, exec, s[0:1]
	v_or_b32_e32 v8, 0x800, v0
	v_cmp_gt_u32_e64 s[6:7], s28, v8
	s_and_saveexec_b64 s[0:1], s[6:7]
	s_cbranch_execz .LBB10_19
; %bb.18:
	v_add_co_u32_e32 v12, vcc, 0x1000, v9
	v_addc_co_u32_e32 v13, vcc, 0, v10, vcc
	global_load_ushort v8, v[12:13], off
	s_mov_b32 s2, 0xffff
	s_waitcnt vmcnt(0)
	v_bfi_b32 v5, s2, v8, v5
.LBB10_19:
	s_or_b64 exec, exec, s[0:1]
	v_or_b32_e32 v8, 0x900, v0
	v_cmp_gt_u32_e64 s[4:5], s28, v8
	s_and_saveexec_b64 s[0:1], s[4:5]
	s_cbranch_execz .LBB10_21
; %bb.20:
	v_add_co_u32_e32 v12, vcc, 0x1000, v9
	v_addc_co_u32_e32 v13, vcc, 0, v10, vcc
	global_load_ushort v8, v[12:13], off offset:512
	s_mov_b32 s2, 0x5040100
	s_waitcnt vmcnt(0)
	v_perm_b32 v5, v8, v5, s2
.LBB10_21:
	s_or_b64 exec, exec, s[0:1]
	v_or_b32_e32 v8, 0xa00, v0
	v_cmp_gt_u32_e64 s[2:3], s28, v8
	s_and_saveexec_b64 s[0:1], s[2:3]
	s_cbranch_execz .LBB10_23
; %bb.22:
	v_add_co_u32_e32 v12, vcc, 0x1000, v9
	v_addc_co_u32_e32 v13, vcc, 0, v10, vcc
	global_load_ushort v8, v[12:13], off offset:1024
	s_mov_b32 s29, 0xffff
	s_waitcnt vmcnt(0)
	v_bfi_b32 v6, s29, v8, v6
.LBB10_23:
	s_or_b64 exec, exec, s[0:1]
	v_or_b32_e32 v8, 0xb00, v0
	v_cmp_gt_u32_e64 s[0:1], s28, v8
	s_and_saveexec_b64 s[28:29], s[0:1]
	s_cbranch_execz .LBB10_25
; %bb.24:
	v_add_co_u32_e32 v8, vcc, 0x1000, v9
	v_addc_co_u32_e32 v9, vcc, 0, v10, vcc
	global_load_ushort v8, v[8:9], off offset:1536
	s_mov_b32 s30, 0x5040100
	s_waitcnt vmcnt(0)
	v_perm_b32 v6, v8, v6, s30
.LBB10_25:
	s_or_b64 exec, exec, s[28:29]
	s_movk_i32 s28, 0x700
	v_lshlrev_b32_e32 v8, 2, v0
	v_mov_b32_e32 v9, 0
	v_cmp_gt_u32_e32 vcc, s28, v7
	ds_write2st64_b32 v8, v9, v9 offset1:4
	ds_write2st64_b32 v8, v9, v9 offset0:8 offset1:12
	ds_write_b32 v8, v9 offset:4096
	s_and_saveexec_b64 s[28:29], vcc
	s_cbranch_execz .LBB10_29
; %bb.26:
	s_movk_i32 s30, 0x200
	v_cmp_gt_u32_e32 vcc, s30, v0
	ds_write_b32 v8, v9 offset:5120
	s_and_b64 exec, exec, vcc
	s_cbranch_execz .LBB10_29
; %bb.27:
	s_movk_i32 s30, 0x100
	v_mov_b32_e32 v7, 0
	v_cmp_gt_u32_e32 vcc, s30, v0
	ds_write_b32 v8, v7 offset:6144
	s_and_b64 exec, exec, vcc
; %bb.28:
	ds_write_b32 v8, v7 offset:7168
.LBB10_29:
	s_or_b64 exec, exec, s[28:29]
	s_cmp_gt_u32 s35, s34
	s_cselect_b64 s[28:29], -1, 0
	s_cmp_le_u32 s35, s34
	s_waitcnt lgkmcnt(0)
	s_barrier
	s_cbranch_scc1 .LBB10_78
; %bb.30:
	v_and_b32_e32 v7, 3, v0
	v_lshlrev_b32_e32 v7, 2, v7
	s_sub_i32 s33, s35, s34
	v_xor_b32_e32 v8, -1, v1
	v_mov_b32_e32 v9, 1
	s_mov_b32 s36, s33
	v_mov_b32_e32 v10, v7
	s_mov_b32 s37, s34
	s_branch .LBB10_32
.LBB10_31:                              ;   in Loop: Header=BB10_32 Depth=1
	s_or_b64 exec, exec, s[30:31]
	s_add_i32 s37, s37, 8
	s_add_i32 s36, s36, -8
	s_cmp_ge_u32 s37, s35
	v_add_u32_e32 v10, 0x1000, v10
	s_cbranch_scc1 .LBB10_34
.LBB10_32:                              ; =>This Inner Loop Header: Depth=1
	s_and_saveexec_b64 s[30:31], s[22:23]
	s_cbranch_execz .LBB10_31
; %bb.33:                               ;   in Loop: Header=BB10_32 Depth=1
	s_min_u32 s38, s36, 8
	v_lshrrev_b32_sdwa v12, s37, v8 dst_sel:DWORD dst_unused:UNUSED_PAD src0_sel:DWORD src1_sel:WORD_0
	v_bfe_u32 v12, v12, 0, s38
	v_lshl_add_u32 v12, v12, 4, v10
	ds_add_u32 v12, v9
	s_branch .LBB10_31
.LBB10_34:
	v_mov_b32_e32 v8, -1
	v_xor_b32_sdwa v1, v1, v8 dst_sel:DWORD dst_unused:UNUSED_PAD src0_sel:WORD_1 src1_sel:DWORD
	v_mov_b32_e32 v8, 1
	s_mov_b32 s30, s33
	v_mov_b32_e32 v9, v7
	s_mov_b32 s31, s34
	s_branch .LBB10_36
.LBB10_35:                              ;   in Loop: Header=BB10_36 Depth=1
	s_or_b64 exec, exec, s[22:23]
	s_add_i32 s31, s31, 8
	s_add_i32 s30, s30, -8
	s_cmp_lt_u32 s31, s35
	v_add_u32_e32 v9, 0x1000, v9
	s_cbranch_scc0 .LBB10_38
.LBB10_36:                              ; =>This Inner Loop Header: Depth=1
	s_and_saveexec_b64 s[22:23], s[20:21]
	s_cbranch_execz .LBB10_35
; %bb.37:                               ;   in Loop: Header=BB10_36 Depth=1
	s_min_u32 s36, s30, 8
	v_lshrrev_b32_sdwa v10, s31, v1 dst_sel:DWORD dst_unused:UNUSED_PAD src0_sel:DWORD src1_sel:WORD_0
	v_bfe_u32 v10, v10, 0, s36
	v_lshl_add_u32 v10, v10, 4, v9
	ds_add_u32 v10, v8
	s_branch .LBB10_35
.LBB10_38:
	v_xor_b32_e32 v1, -1, v2
	v_mov_b32_e32 v8, 1
	s_mov_b32 s22, s33
	v_mov_b32_e32 v9, v7
	s_mov_b32 s23, s34
	s_branch .LBB10_40
.LBB10_39:                              ;   in Loop: Header=BB10_40 Depth=1
	s_or_b64 exec, exec, s[20:21]
	s_add_i32 s23, s23, 8
	s_add_i32 s22, s22, -8
	s_cmp_lt_u32 s23, s35
	v_add_u32_e32 v9, 0x1000, v9
	s_cbranch_scc0 .LBB10_42
.LBB10_40:                              ; =>This Inner Loop Header: Depth=1
	s_and_saveexec_b64 s[20:21], s[18:19]
	s_cbranch_execz .LBB10_39
; %bb.41:                               ;   in Loop: Header=BB10_40 Depth=1
	s_min_u32 s30, s22, 8
	v_lshrrev_b32_sdwa v10, s23, v1 dst_sel:DWORD dst_unused:UNUSED_PAD src0_sel:DWORD src1_sel:WORD_0
	v_bfe_u32 v10, v10, 0, s30
	v_lshl_add_u32 v10, v10, 4, v9
	ds_add_u32 v10, v8
	s_branch .LBB10_39
.LBB10_42:
	v_mov_b32_e32 v1, -1
	v_xor_b32_sdwa v1, v2, v1 dst_sel:DWORD dst_unused:UNUSED_PAD src0_sel:WORD_1 src1_sel:DWORD
	v_mov_b32_e32 v2, 1
	s_mov_b32 s20, s33
	v_mov_b32_e32 v8, v7
	s_mov_b32 s21, s34
	s_branch .LBB10_44
.LBB10_43:                              ;   in Loop: Header=BB10_44 Depth=1
	s_or_b64 exec, exec, s[18:19]
	s_add_i32 s21, s21, 8
	s_add_i32 s20, s20, -8
	s_cmp_lt_u32 s21, s35
	v_add_u32_e32 v8, 0x1000, v8
	s_cbranch_scc0 .LBB10_46
.LBB10_44:                              ; =>This Inner Loop Header: Depth=1
	s_and_saveexec_b64 s[18:19], s[16:17]
	s_cbranch_execz .LBB10_43
; %bb.45:                               ;   in Loop: Header=BB10_44 Depth=1
	s_min_u32 s22, s20, 8
	v_lshrrev_b32_sdwa v9, s21, v1 dst_sel:DWORD dst_unused:UNUSED_PAD src0_sel:DWORD src1_sel:WORD_0
	v_bfe_u32 v9, v9, 0, s22
	v_lshl_add_u32 v9, v9, 4, v8
	ds_add_u32 v9, v2
	s_branch .LBB10_43
.LBB10_46:
	v_xor_b32_e32 v1, -1, v3
	v_mov_b32_e32 v2, 1
	s_mov_b32 s18, s33
	v_mov_b32_e32 v8, v7
	s_mov_b32 s19, s34
	s_branch .LBB10_48
.LBB10_47:                              ;   in Loop: Header=BB10_48 Depth=1
	s_or_b64 exec, exec, s[16:17]
	s_add_i32 s19, s19, 8
	s_add_i32 s18, s18, -8
	s_cmp_lt_u32 s19, s35
	v_add_u32_e32 v8, 0x1000, v8
	s_cbranch_scc0 .LBB10_50
.LBB10_48:                              ; =>This Inner Loop Header: Depth=1
	s_and_saveexec_b64 s[16:17], s[14:15]
	s_cbranch_execz .LBB10_47
; %bb.49:                               ;   in Loop: Header=BB10_48 Depth=1
	s_min_u32 s20, s18, 8
	v_lshrrev_b32_sdwa v9, s19, v1 dst_sel:DWORD dst_unused:UNUSED_PAD src0_sel:DWORD src1_sel:WORD_0
	v_bfe_u32 v9, v9, 0, s20
	v_lshl_add_u32 v9, v9, 4, v8
	ds_add_u32 v9, v2
	s_branch .LBB10_47
.LBB10_50:
	;; [unrolled: 49-line block ×5, first 2 shown]
	v_mov_b32_e32 v1, -1
	v_xor_b32_sdwa v1, v6, v1 dst_sel:DWORD dst_unused:UNUSED_PAD src0_sel:WORD_1 src1_sel:DWORD
	v_mov_b32_e32 v2, 1
	s_mov_b32 s4, s34
	s_branch .LBB10_76
.LBB10_75:                              ;   in Loop: Header=BB10_76 Depth=1
	s_or_b64 exec, exec, s[2:3]
	s_add_i32 s4, s4, 8
	s_add_i32 s33, s33, -8
	s_cmp_lt_u32 s4, s35
	v_add_u32_e32 v7, 0x1000, v7
	s_cbranch_scc0 .LBB10_78
.LBB10_76:                              ; =>This Inner Loop Header: Depth=1
	s_and_saveexec_b64 s[2:3], s[0:1]
	s_cbranch_execz .LBB10_75
; %bb.77:                               ;   in Loop: Header=BB10_76 Depth=1
	s_min_u32 s5, s33, 8
	v_lshrrev_b32_sdwa v3, s4, v1 dst_sel:DWORD dst_unused:UNUSED_PAD src0_sel:DWORD src1_sel:WORD_0
	v_bfe_u32 v3, v3, 0, s5
	v_lshl_add_u32 v3, v3, 4, v7
	ds_add_u32 v3, v2
	s_branch .LBB10_75
.LBB10_78:
	s_and_b64 vcc, exec, s[28:29]
	s_waitcnt lgkmcnt(0)
	s_barrier
	s_cbranch_vccz .LBB10_83
; %bb.79:
	s_movk_i32 s0, 0x100
	v_cmp_gt_u32_e32 vcc, s0, v0
	v_lshlrev_b32_e32 v3, 4, v0
	v_mov_b32_e32 v2, 0
	v_mov_b32_e32 v1, v0
	s_mov_b32 s4, s34
	s_branch .LBB10_81
.LBB10_80:                              ;   in Loop: Header=BB10_81 Depth=1
	s_or_b64 exec, exec, s[2:3]
	s_add_i32 s4, s4, 8
	v_add_u32_e32 v1, 0x100, v1
	s_cmp_lt_u32 s4, s35
	v_add_u32_e32 v3, 0x1000, v3
	s_cbranch_scc0 .LBB10_83
.LBB10_81:                              ; =>This Inner Loop Header: Depth=1
	s_and_saveexec_b64 s[2:3], vcc
	s_cbranch_execz .LBB10_80
; %bb.82:                               ;   in Loop: Header=BB10_81 Depth=1
	ds_read2_b32 v[4:5], v3 offset1:1
	ds_read2_b32 v[6:7], v3 offset0:2 offset1:3
	v_lshlrev_b64 v[8:9], 3, v[1:2]
	v_mov_b32_e32 v10, s27
	s_waitcnt lgkmcnt(1)
	v_add_u32_e32 v4, v5, v4
	s_waitcnt lgkmcnt(0)
	v_add3_u32 v4, v4, v6, v7
	v_add_co_u32_e64 v6, s[0:1], s26, v8
	v_addc_co_u32_e64 v7, s[0:1], v10, v9, s[0:1]
	v_mov_b32_e32 v5, v2
	global_atomic_add_x2 v[6:7], v[4:5], off
	s_branch .LBB10_80
.LBB10_83:
	s_mov_b64 s[0:1], 0
.LBB10_84:
	s_and_b64 vcc, exec, s[0:1]
	s_cbranch_vccz .LBB10_128
; %bb.85:
	v_mov_b32_e32 v1, s25
	v_add_co_u32_e32 v2, vcc, s24, v11
	v_addc_co_u32_e32 v7, vcc, 0, v1, vcc
	v_add_co_u32_e32 v1, vcc, 0x1000, v2
	global_load_ushort v3, v11, s[24:25] offset:2048
	global_load_ushort v4, v11, s[24:25] offset:2560
	;; [unrolled: 1-line block ×4, first 2 shown]
	v_addc_co_u32_e32 v2, vcc, 0, v7, vcc
	global_load_ushort v12, v11, s[24:25]
	global_load_ushort v13, v11, s[24:25] offset:512
	global_load_ushort v14, v11, s[24:25] offset:1024
	;; [unrolled: 1-line block ×3, first 2 shown]
	global_load_ushort v7, v[1:2], off
	global_load_ushort v8, v[1:2], off offset:512
	global_load_ushort v9, v[1:2], off offset:1024
	;; [unrolled: 1-line block ×3, first 2 shown]
	s_cmp_lg_u32 s34, 0
	s_cselect_b64 s[0:1], -1, 0
	s_cmp_lg_u32 s35, 16
	s_cselect_b64 s[2:3], -1, 0
	s_or_b64 s[2:3], s[0:1], s[2:3]
	v_mov_b32_e32 v1, 0
	s_mov_b64 s[0:1], -1
	s_and_b64 vcc, exec, s[2:3]
	v_lshlrev_b32_e32 v11, 2, v0
	s_cbranch_vccz .LBB10_121
; %bb.86:
	v_or_b32_e32 v2, 0x400, v0
	s_movk_i32 s0, 0x700
	v_cmp_gt_u32_e32 vcc, s0, v2
	ds_write2st64_b32 v11, v1, v1 offset1:4
	ds_write2st64_b32 v11, v1, v1 offset0:8 offset1:12
	ds_write_b32 v11, v1 offset:4096
	s_and_saveexec_b64 s[0:1], vcc
	s_cbranch_execz .LBB10_90
; %bb.87:
	s_movk_i32 s2, 0x200
	v_mov_b32_e32 v1, 0
	v_cmp_gt_u32_e32 vcc, s2, v0
	ds_write_b32 v11, v1 offset:5120
	s_and_b64 exec, exec, vcc
	s_cbranch_execz .LBB10_90
; %bb.88:
	s_movk_i32 s2, 0x100
	v_cmp_gt_u32_e32 vcc, s2, v0
	ds_write_b32 v11, v1 offset:6144
	s_and_b64 exec, exec, vcc
; %bb.89:
	v_mov_b32_e32 v1, 0
	ds_write_b32 v11, v1 offset:7168
.LBB10_90:
	s_or_b64 exec, exec, s[0:1]
	s_cmp_gt_u32 s35, s34
	s_cselect_b64 s[0:1], -1, 0
	s_cmp_le_u32 s35, s34
	s_waitcnt vmcnt(0) lgkmcnt(0)
	s_barrier
	s_cbranch_scc1 .LBB10_115
; %bb.91:
	v_and_b32_e32 v1, 3, v0
	v_lshlrev_b32_e32 v1, 2, v1
	s_sub_i32 s2, s35, s34
	v_xor_b32_e32 v2, -1, v12
	v_mov_b32_e32 v16, 1
	s_mov_b32 s3, s2
	v_mov_b32_e32 v17, v1
	s_mov_b32 s4, s34
.LBB10_92:                              ; =>This Inner Loop Header: Depth=1
	s_min_u32 s5, s3, 8
	v_lshrrev_b32_sdwa v18, s4, v2 dst_sel:DWORD dst_unused:UNUSED_PAD src0_sel:DWORD src1_sel:WORD_0
	v_bfe_u32 v18, v18, 0, s5
	v_lshl_add_u32 v18, v18, 4, v17
	ds_add_u32 v18, v16
	s_add_i32 s4, s4, 8
	s_add_i32 s3, s3, -8
	s_cmp_ge_u32 s4, s35
	v_add_u32_e32 v17, 0x1000, v17
	s_cbranch_scc0 .LBB10_92
; %bb.93:
	v_xor_b32_e32 v2, -1, v13
	v_mov_b32_e32 v16, 1
	s_mov_b32 s3, s2
	v_mov_b32_e32 v17, v1
	s_mov_b32 s4, s34
.LBB10_94:                              ; =>This Inner Loop Header: Depth=1
	s_min_u32 s5, s3, 8
	v_lshrrev_b32_sdwa v18, s4, v2 dst_sel:DWORD dst_unused:UNUSED_PAD src0_sel:DWORD src1_sel:WORD_0
	v_bfe_u32 v18, v18, 0, s5
	v_lshl_add_u32 v18, v18, 4, v17
	ds_add_u32 v18, v16
	s_add_i32 s4, s4, 8
	s_add_i32 s3, s3, -8
	s_cmp_lt_u32 s4, s35
	v_add_u32_e32 v17, 0x1000, v17
	s_cbranch_scc1 .LBB10_94
; %bb.95:
	v_xor_b32_e32 v2, -1, v14
	v_mov_b32_e32 v16, 1
	s_mov_b32 s3, s2
	v_mov_b32_e32 v17, v1
	s_mov_b32 s4, s34
.LBB10_96:                              ; =>This Inner Loop Header: Depth=1
	s_min_u32 s5, s3, 8
	v_lshrrev_b32_sdwa v18, s4, v2 dst_sel:DWORD dst_unused:UNUSED_PAD src0_sel:DWORD src1_sel:WORD_0
	v_bfe_u32 v18, v18, 0, s5
	v_lshl_add_u32 v18, v18, 4, v17
	ds_add_u32 v18, v16
	s_add_i32 s4, s4, 8
	s_add_i32 s3, s3, -8
	s_cmp_lt_u32 s4, s35
	v_add_u32_e32 v17, 0x1000, v17
	s_cbranch_scc1 .LBB10_96
	;; [unrolled: 17-line block ×3, first 2 shown]
; %bb.99:
	v_xor_b32_e32 v2, -1, v3
	v_mov_b32_e32 v16, 1
	s_mov_b32 s3, s2
	v_mov_b32_e32 v17, v1
	s_mov_b32 s4, s34
.LBB10_100:                             ; =>This Inner Loop Header: Depth=1
	s_min_u32 s5, s3, 8
	v_lshrrev_b32_sdwa v18, s4, v2 dst_sel:DWORD dst_unused:UNUSED_PAD src0_sel:DWORD src1_sel:WORD_0
	v_bfe_u32 v18, v18, 0, s5
	v_lshl_add_u32 v18, v18, 4, v17
	ds_add_u32 v18, v16
	s_add_i32 s4, s4, 8
	s_add_i32 s3, s3, -8
	s_cmp_lt_u32 s4, s35
	v_add_u32_e32 v17, 0x1000, v17
	s_cbranch_scc1 .LBB10_100
; %bb.101:
	v_xor_b32_e32 v2, -1, v4
	v_mov_b32_e32 v16, 1
	s_mov_b32 s3, s2
	v_mov_b32_e32 v17, v1
	s_mov_b32 s4, s34
.LBB10_102:                             ; =>This Inner Loop Header: Depth=1
	s_min_u32 s5, s3, 8
	v_lshrrev_b32_sdwa v18, s4, v2 dst_sel:DWORD dst_unused:UNUSED_PAD src0_sel:DWORD src1_sel:WORD_0
	v_bfe_u32 v18, v18, 0, s5
	v_lshl_add_u32 v18, v18, 4, v17
	ds_add_u32 v18, v16
	s_add_i32 s4, s4, 8
	s_add_i32 s3, s3, -8
	s_cmp_lt_u32 s4, s35
	v_add_u32_e32 v17, 0x1000, v17
	s_cbranch_scc1 .LBB10_102
	;; [unrolled: 17-line block ×7, first 2 shown]
; %bb.113:
	v_xor_b32_e32 v2, -1, v10
	v_mov_b32_e32 v16, 1
	s_mov_b32 s3, s34
.LBB10_114:                             ; =>This Inner Loop Header: Depth=1
	s_min_u32 s4, s2, 8
	v_lshrrev_b32_sdwa v17, s3, v2 dst_sel:DWORD dst_unused:UNUSED_PAD src0_sel:DWORD src1_sel:WORD_0
	v_bfe_u32 v17, v17, 0, s4
	v_lshl_add_u32 v17, v17, 4, v1
	ds_add_u32 v17, v16
	s_add_i32 s3, s3, 8
	s_add_i32 s2, s2, -8
	s_cmp_lt_u32 s3, s35
	v_add_u32_e32 v1, 0x1000, v1
	s_cbranch_scc1 .LBB10_114
.LBB10_115:
	s_and_b64 vcc, exec, s[0:1]
	s_waitcnt lgkmcnt(0)
	s_barrier
	s_cbranch_vccz .LBB10_120
; %bb.116:
	s_movk_i32 s0, 0x100
	v_cmp_gt_u32_e32 vcc, s0, v0
	v_lshlrev_b32_e32 v16, 4, v0
	v_mov_b32_e32 v2, 0
	v_mov_b32_e32 v1, v0
	s_branch .LBB10_118
.LBB10_117:                             ;   in Loop: Header=BB10_118 Depth=1
	s_or_b64 exec, exec, s[2:3]
	s_add_i32 s34, s34, 8
	v_add_u32_e32 v1, 0x100, v1
	s_cmp_ge_u32 s34, s35
	v_add_u32_e32 v16, 0x1000, v16
	s_cbranch_scc1 .LBB10_120
.LBB10_118:                             ; =>This Inner Loop Header: Depth=1
	s_and_saveexec_b64 s[2:3], vcc
	s_cbranch_execz .LBB10_117
; %bb.119:                              ;   in Loop: Header=BB10_118 Depth=1
	ds_read2_b32 v[17:18], v16 offset1:1
	ds_read2_b32 v[19:20], v16 offset0:2 offset1:3
	v_lshlrev_b64 v[21:22], 3, v[1:2]
	v_mov_b32_e32 v23, s27
	s_waitcnt lgkmcnt(1)
	v_add_u32_e32 v17, v18, v17
	s_waitcnt lgkmcnt(0)
	v_add3_u32 v17, v17, v19, v20
	v_add_co_u32_e64 v19, s[0:1], s26, v21
	v_addc_co_u32_e64 v20, s[0:1], v23, v22, s[0:1]
	v_mov_b32_e32 v18, v2
	global_atomic_add_x2 v[19:20], v[17:18], off
	s_branch .LBB10_117
.LBB10_120:
	s_mov_b64 s[0:1], 0
.LBB10_121:
	s_and_b64 vcc, exec, s[0:1]
	s_cbranch_vccz .LBB10_128
; %bb.122:
	v_or_b32_e32 v2, 0x400, v0
	s_movk_i32 s0, 0x700
	v_mov_b32_e32 v1, 0
	v_cmp_gt_u32_e32 vcc, s0, v2
	ds_write2st64_b32 v11, v1, v1 offset1:4
	ds_write2st64_b32 v11, v1, v1 offset0:8 offset1:12
	ds_write_b32 v11, v1 offset:4096
	s_and_saveexec_b64 s[0:1], vcc
	s_cbranch_execz .LBB10_126
; %bb.123:
	s_movk_i32 s2, 0x200
	v_cmp_gt_u32_e32 vcc, s2, v0
	ds_write_b32 v11, v1 offset:5120
	s_and_b64 exec, exec, vcc
	s_cbranch_execz .LBB10_126
; %bb.124:
	s_movk_i32 s2, 0x100
	v_mov_b32_e32 v1, 0
	v_cmp_gt_u32_e32 vcc, s2, v0
	ds_write_b32 v11, v1 offset:6144
	s_and_b64 exec, exec, vcc
; %bb.125:
	ds_write_b32 v11, v1 offset:7168
.LBB10_126:
	s_or_b64 exec, exec, s[0:1]
	s_waitcnt vmcnt(7)
	v_xor_b32_e32 v1, -1, v12
	s_waitcnt vmcnt(6)
	v_xor_b32_e32 v2, -1, v13
	v_and_b32_e32 v13, 3, v0
	v_and_b32_e32 v1, 0xffff, v1
	s_waitcnt vmcnt(5)
	v_xor_b32_e32 v11, -1, v14
	v_lshlrev_b32_e32 v14, 4, v1
	v_lshlrev_b32_e32 v13, 2, v13
	s_movk_i32 s0, 0xff0
	s_waitcnt vmcnt(4)
	v_xor_b32_e32 v12, -1, v15
	v_and_or_b32 v14, v14, s0, v13
	v_mov_b32_e32 v15, 1
	v_bfe_u32 v1, v1, 8, 8
	s_waitcnt vmcnt(0) lgkmcnt(0)
	s_barrier
	ds_add_u32 v14, v15
	v_lshl_or_b32 v1, v1, 4, v13
	ds_add_u32 v1, v15 offset:4096
	v_and_b32_e32 v1, 0xffff, v2
	v_lshlrev_b32_e32 v2, 4, v1
	v_and_or_b32 v2, v2, s0, v13
	v_bfe_u32 v1, v1, 8, 8
	ds_add_u32 v2, v15
	v_lshl_or_b32 v1, v1, 4, v13
	ds_add_u32 v1, v15 offset:4096
	v_and_b32_e32 v1, 0xffff, v11
	v_lshlrev_b32_e32 v2, 4, v1
	v_and_or_b32 v2, v2, s0, v13
	v_bfe_u32 v1, v1, 8, 8
	;; [unrolled: 7-line block ×3, first 2 shown]
	v_xor_b32_e32 v3, -1, v3
	ds_add_u32 v2, v15
	v_lshl_or_b32 v1, v1, 4, v13
	ds_add_u32 v1, v15 offset:4096
	v_and_b32_e32 v1, 0xffff, v3
	v_lshlrev_b32_e32 v2, 4, v1
	v_and_or_b32 v2, v2, s0, v13
	v_bfe_u32 v1, v1, 8, 8
	v_xor_b32_e32 v4, -1, v4
	ds_add_u32 v2, v15
	v_lshl_or_b32 v1, v1, 4, v13
	ds_add_u32 v1, v15 offset:4096
	v_and_b32_e32 v1, 0xffff, v4
	v_lshlrev_b32_e32 v2, 4, v1
	v_and_or_b32 v2, v2, s0, v13
	v_bfe_u32 v1, v1, 8, 8
	;; [unrolled: 8-line block ×8, first 2 shown]
	ds_add_u32 v2, v15
	v_lshl_or_b32 v1, v1, 4, v13
	ds_add_u32 v1, v15 offset:4096
	s_movk_i32 s0, 0x100
	v_cmp_gt_u32_e32 vcc, s0, v0
	s_waitcnt lgkmcnt(0)
	s_barrier
	s_and_saveexec_b64 s[0:1], vcc
	s_cbranch_execz .LBB10_128
; %bb.127:
	v_lshlrev_b32_e32 v6, 4, v0
	ds_read2_b32 v[1:2], v6 offset1:1
	ds_read2_b32 v[3:4], v6 offset0:2 offset1:3
	v_lshlrev_b32_e32 v7, 3, v0
	v_mov_b32_e32 v5, 0
	v_or_b32_e32 v0, 0x1000, v6
	s_waitcnt lgkmcnt(1)
	v_add_u32_e32 v1, v2, v1
	s_waitcnt lgkmcnt(0)
	v_add3_u32 v4, v1, v3, v4
	global_atomic_add_x2 v7, v[4:5], s[26:27]
	v_or_b32_e32 v2, 0x1008, v6
	ds_read2_b32 v[0:1], v0 offset1:1
	ds_read2_b32 v[2:3], v2 offset1:1
	s_waitcnt lgkmcnt(1)
	v_add_u32_e32 v0, v1, v0
	s_waitcnt lgkmcnt(0)
	v_add3_u32 v4, v0, v2, v3
	global_atomic_add_x2 v7, v[4:5], s[26:27] offset:2048
.LBB10_128:
	s_endpgm
	.section	.rodata,"a",@progbits
	.p2align	6, 0x0
	.amdhsa_kernel _ZN7rocprim17ROCPRIM_304000_NS6detail26onesweep_histograms_kernelINS1_34wrapped_radix_sort_onesweep_configINS0_14default_configEtN2at4cuda3cub6detail10OpaqueTypeILi8EEEEELb1EPKtmNS0_19identity_decomposerEEEvT1_PT2_SG_SG_T3_jj
		.amdhsa_group_segment_fixed_size 8192
		.amdhsa_private_segment_fixed_size 0
		.amdhsa_kernarg_size 44
		.amdhsa_user_sgpr_count 6
		.amdhsa_user_sgpr_private_segment_buffer 1
		.amdhsa_user_sgpr_dispatch_ptr 0
		.amdhsa_user_sgpr_queue_ptr 0
		.amdhsa_user_sgpr_kernarg_segment_ptr 1
		.amdhsa_user_sgpr_dispatch_id 0
		.amdhsa_user_sgpr_flat_scratch_init 0
		.amdhsa_user_sgpr_private_segment_size 0
		.amdhsa_uses_dynamic_stack 0
		.amdhsa_system_sgpr_private_segment_wavefront_offset 0
		.amdhsa_system_sgpr_workgroup_id_x 1
		.amdhsa_system_sgpr_workgroup_id_y 0
		.amdhsa_system_sgpr_workgroup_id_z 0
		.amdhsa_system_sgpr_workgroup_info 0
		.amdhsa_system_vgpr_workitem_id 0
		.amdhsa_next_free_vgpr 29
		.amdhsa_next_free_sgpr 61
		.amdhsa_reserve_vcc 1
		.amdhsa_reserve_flat_scratch 0
		.amdhsa_float_round_mode_32 0
		.amdhsa_float_round_mode_16_64 0
		.amdhsa_float_denorm_mode_32 3
		.amdhsa_float_denorm_mode_16_64 3
		.amdhsa_dx10_clamp 1
		.amdhsa_ieee_mode 1
		.amdhsa_fp16_overflow 0
		.amdhsa_exception_fp_ieee_invalid_op 0
		.amdhsa_exception_fp_denorm_src 0
		.amdhsa_exception_fp_ieee_div_zero 0
		.amdhsa_exception_fp_ieee_overflow 0
		.amdhsa_exception_fp_ieee_underflow 0
		.amdhsa_exception_fp_ieee_inexact 0
		.amdhsa_exception_int_div_zero 0
	.end_amdhsa_kernel
	.section	.text._ZN7rocprim17ROCPRIM_304000_NS6detail26onesweep_histograms_kernelINS1_34wrapped_radix_sort_onesweep_configINS0_14default_configEtN2at4cuda3cub6detail10OpaqueTypeILi8EEEEELb1EPKtmNS0_19identity_decomposerEEEvT1_PT2_SG_SG_T3_jj,"axG",@progbits,_ZN7rocprim17ROCPRIM_304000_NS6detail26onesweep_histograms_kernelINS1_34wrapped_radix_sort_onesweep_configINS0_14default_configEtN2at4cuda3cub6detail10OpaqueTypeILi8EEEEELb1EPKtmNS0_19identity_decomposerEEEvT1_PT2_SG_SG_T3_jj,comdat
.Lfunc_end10:
	.size	_ZN7rocprim17ROCPRIM_304000_NS6detail26onesweep_histograms_kernelINS1_34wrapped_radix_sort_onesweep_configINS0_14default_configEtN2at4cuda3cub6detail10OpaqueTypeILi8EEEEELb1EPKtmNS0_19identity_decomposerEEEvT1_PT2_SG_SG_T3_jj, .Lfunc_end10-_ZN7rocprim17ROCPRIM_304000_NS6detail26onesweep_histograms_kernelINS1_34wrapped_radix_sort_onesweep_configINS0_14default_configEtN2at4cuda3cub6detail10OpaqueTypeILi8EEEEELb1EPKtmNS0_19identity_decomposerEEEvT1_PT2_SG_SG_T3_jj
                                        ; -- End function
	.set _ZN7rocprim17ROCPRIM_304000_NS6detail26onesweep_histograms_kernelINS1_34wrapped_radix_sort_onesweep_configINS0_14default_configEtN2at4cuda3cub6detail10OpaqueTypeILi8EEEEELb1EPKtmNS0_19identity_decomposerEEEvT1_PT2_SG_SG_T3_jj.num_vgpr, 24
	.set _ZN7rocprim17ROCPRIM_304000_NS6detail26onesweep_histograms_kernelINS1_34wrapped_radix_sort_onesweep_configINS0_14default_configEtN2at4cuda3cub6detail10OpaqueTypeILi8EEEEELb1EPKtmNS0_19identity_decomposerEEEvT1_PT2_SG_SG_T3_jj.num_agpr, 0
	.set _ZN7rocprim17ROCPRIM_304000_NS6detail26onesweep_histograms_kernelINS1_34wrapped_radix_sort_onesweep_configINS0_14default_configEtN2at4cuda3cub6detail10OpaqueTypeILi8EEEEELb1EPKtmNS0_19identity_decomposerEEEvT1_PT2_SG_SG_T3_jj.numbered_sgpr, 39
	.set _ZN7rocprim17ROCPRIM_304000_NS6detail26onesweep_histograms_kernelINS1_34wrapped_radix_sort_onesweep_configINS0_14default_configEtN2at4cuda3cub6detail10OpaqueTypeILi8EEEEELb1EPKtmNS0_19identity_decomposerEEEvT1_PT2_SG_SG_T3_jj.num_named_barrier, 0
	.set _ZN7rocprim17ROCPRIM_304000_NS6detail26onesweep_histograms_kernelINS1_34wrapped_radix_sort_onesweep_configINS0_14default_configEtN2at4cuda3cub6detail10OpaqueTypeILi8EEEEELb1EPKtmNS0_19identity_decomposerEEEvT1_PT2_SG_SG_T3_jj.private_seg_size, 0
	.set _ZN7rocprim17ROCPRIM_304000_NS6detail26onesweep_histograms_kernelINS1_34wrapped_radix_sort_onesweep_configINS0_14default_configEtN2at4cuda3cub6detail10OpaqueTypeILi8EEEEELb1EPKtmNS0_19identity_decomposerEEEvT1_PT2_SG_SG_T3_jj.uses_vcc, 1
	.set _ZN7rocprim17ROCPRIM_304000_NS6detail26onesweep_histograms_kernelINS1_34wrapped_radix_sort_onesweep_configINS0_14default_configEtN2at4cuda3cub6detail10OpaqueTypeILi8EEEEELb1EPKtmNS0_19identity_decomposerEEEvT1_PT2_SG_SG_T3_jj.uses_flat_scratch, 0
	.set _ZN7rocprim17ROCPRIM_304000_NS6detail26onesweep_histograms_kernelINS1_34wrapped_radix_sort_onesweep_configINS0_14default_configEtN2at4cuda3cub6detail10OpaqueTypeILi8EEEEELb1EPKtmNS0_19identity_decomposerEEEvT1_PT2_SG_SG_T3_jj.has_dyn_sized_stack, 0
	.set _ZN7rocprim17ROCPRIM_304000_NS6detail26onesweep_histograms_kernelINS1_34wrapped_radix_sort_onesweep_configINS0_14default_configEtN2at4cuda3cub6detail10OpaqueTypeILi8EEEEELb1EPKtmNS0_19identity_decomposerEEEvT1_PT2_SG_SG_T3_jj.has_recursion, 0
	.set _ZN7rocprim17ROCPRIM_304000_NS6detail26onesweep_histograms_kernelINS1_34wrapped_radix_sort_onesweep_configINS0_14default_configEtN2at4cuda3cub6detail10OpaqueTypeILi8EEEEELb1EPKtmNS0_19identity_decomposerEEEvT1_PT2_SG_SG_T3_jj.has_indirect_call, 0
	.section	.AMDGPU.csdata,"",@progbits
; Kernel info:
; codeLenInByte = 4828
; TotalNumSgprs: 43
; NumVgprs: 24
; ScratchSize: 0
; MemoryBound: 0
; FloatMode: 240
; IeeeMode: 1
; LDSByteSize: 8192 bytes/workgroup (compile time only)
; SGPRBlocks: 8
; VGPRBlocks: 7
; NumSGPRsForWavesPerEU: 65
; NumVGPRsForWavesPerEU: 29
; Occupancy: 8
; WaveLimiterHint : 1
; COMPUTE_PGM_RSRC2:SCRATCH_EN: 0
; COMPUTE_PGM_RSRC2:USER_SGPR: 6
; COMPUTE_PGM_RSRC2:TRAP_HANDLER: 0
; COMPUTE_PGM_RSRC2:TGID_X_EN: 1
; COMPUTE_PGM_RSRC2:TGID_Y_EN: 0
; COMPUTE_PGM_RSRC2:TGID_Z_EN: 0
; COMPUTE_PGM_RSRC2:TIDIG_COMP_CNT: 0
	.section	.text._ZN7rocprim17ROCPRIM_304000_NS6detail31onesweep_scan_histograms_kernelINS1_34wrapped_radix_sort_onesweep_configINS0_14default_configEtN2at4cuda3cub6detail10OpaqueTypeILi8EEEEEmEEvPT0_,"axG",@progbits,_ZN7rocprim17ROCPRIM_304000_NS6detail31onesweep_scan_histograms_kernelINS1_34wrapped_radix_sort_onesweep_configINS0_14default_configEtN2at4cuda3cub6detail10OpaqueTypeILi8EEEEEmEEvPT0_,comdat
	.protected	_ZN7rocprim17ROCPRIM_304000_NS6detail31onesweep_scan_histograms_kernelINS1_34wrapped_radix_sort_onesweep_configINS0_14default_configEtN2at4cuda3cub6detail10OpaqueTypeILi8EEEEEmEEvPT0_ ; -- Begin function _ZN7rocprim17ROCPRIM_304000_NS6detail31onesweep_scan_histograms_kernelINS1_34wrapped_radix_sort_onesweep_configINS0_14default_configEtN2at4cuda3cub6detail10OpaqueTypeILi8EEEEEmEEvPT0_
	.globl	_ZN7rocprim17ROCPRIM_304000_NS6detail31onesweep_scan_histograms_kernelINS1_34wrapped_radix_sort_onesweep_configINS0_14default_configEtN2at4cuda3cub6detail10OpaqueTypeILi8EEEEEmEEvPT0_
	.p2align	8
	.type	_ZN7rocprim17ROCPRIM_304000_NS6detail31onesweep_scan_histograms_kernelINS1_34wrapped_radix_sort_onesweep_configINS0_14default_configEtN2at4cuda3cub6detail10OpaqueTypeILi8EEEEEmEEvPT0_,@function
_ZN7rocprim17ROCPRIM_304000_NS6detail31onesweep_scan_histograms_kernelINS1_34wrapped_radix_sort_onesweep_configINS0_14default_configEtN2at4cuda3cub6detail10OpaqueTypeILi8EEEEEmEEvPT0_: ; @_ZN7rocprim17ROCPRIM_304000_NS6detail31onesweep_scan_histograms_kernelINS1_34wrapped_radix_sort_onesweep_configINS0_14default_configEtN2at4cuda3cub6detail10OpaqueTypeILi8EEEEEmEEvPT0_
; %bb.0:
	s_load_dwordx2 s[0:1], s[4:5], 0x0
	s_lshl_b32 s2, s6, 8
	s_mov_b32 s3, 0
	s_lshl_b64 s[2:3], s[2:3], 3
	v_lshlrev_b32_e32 v5, 3, v0
	s_waitcnt lgkmcnt(0)
	s_add_u32 s2, s0, s2
	s_movk_i32 s0, 0x100
	s_addc_u32 s3, s1, s3
	v_cmp_gt_u32_e32 vcc, s0, v0
                                        ; implicit-def: $vgpr1_vgpr2
	s_and_saveexec_b64 s[0:1], vcc
	s_cbranch_execz .LBB11_2
; %bb.1:
	global_load_dwordx2 v[1:2], v5, s[2:3]
.LBB11_2:
	s_or_b64 exec, exec, s[0:1]
	v_mbcnt_lo_u32_b32 v3, -1, 0
	v_mbcnt_hi_u32_b32 v6, -1, v3
	v_and_b32_e32 v4, 15, v6
	s_waitcnt vmcnt(0)
	v_mov_b32_dpp v8, v1 row_shr:1 row_mask:0xf bank_mask:0xf
	v_mov_b32_dpp v7, v2 row_shr:1 row_mask:0xf bank_mask:0xf
	v_cmp_ne_u32_e64 s[0:1], 0, v4
	v_mov_b32_e32 v3, v1
	s_and_saveexec_b64 s[4:5], s[0:1]
; %bb.3:
	v_add_co_u32_e64 v3, s[0:1], v1, v8
	v_addc_co_u32_e64 v2, s[0:1], 0, v2, s[0:1]
	v_add_co_u32_e64 v1, s[0:1], 0, v3
	v_addc_co_u32_e64 v2, s[0:1], v7, v2, s[0:1]
; %bb.4:
	s_or_b64 exec, exec, s[4:5]
	v_mov_b32_dpp v8, v3 row_shr:2 row_mask:0xf bank_mask:0xf
	v_mov_b32_dpp v7, v2 row_shr:2 row_mask:0xf bank_mask:0xf
	v_cmp_lt_u32_e64 s[0:1], 1, v4
	s_and_saveexec_b64 s[4:5], s[0:1]
; %bb.5:
	v_add_co_u32_e64 v3, s[0:1], v1, v8
	v_addc_co_u32_e64 v2, s[0:1], 0, v2, s[0:1]
	v_add_co_u32_e64 v1, s[0:1], 0, v3
	v_addc_co_u32_e64 v2, s[0:1], v7, v2, s[0:1]
; %bb.6:
	s_or_b64 exec, exec, s[4:5]
	v_mov_b32_dpp v8, v3 row_shr:4 row_mask:0xf bank_mask:0xf
	v_mov_b32_dpp v7, v2 row_shr:4 row_mask:0xf bank_mask:0xf
	v_cmp_lt_u32_e64 s[0:1], 3, v4
	;; [unrolled: 11-line block ×3, first 2 shown]
	s_and_saveexec_b64 s[4:5], s[0:1]
; %bb.9:
	v_add_co_u32_e64 v3, s[0:1], v1, v8
	v_addc_co_u32_e64 v2, s[0:1], 0, v2, s[0:1]
	v_add_co_u32_e64 v1, s[0:1], 0, v3
	v_addc_co_u32_e64 v2, s[0:1], v7, v2, s[0:1]
; %bb.10:
	s_or_b64 exec, exec, s[4:5]
	v_and_b32_e32 v8, 16, v6
	v_mov_b32_dpp v7, v3 row_bcast:15 row_mask:0xf bank_mask:0xf
	v_mov_b32_dpp v4, v2 row_bcast:15 row_mask:0xf bank_mask:0xf
	v_cmp_ne_u32_e64 s[0:1], 0, v8
	s_and_saveexec_b64 s[4:5], s[0:1]
; %bb.11:
	v_add_co_u32_e64 v3, s[0:1], v1, v7
	v_addc_co_u32_e64 v2, s[0:1], 0, v2, s[0:1]
	v_add_co_u32_e64 v1, s[0:1], 0, v3
	v_addc_co_u32_e64 v2, s[0:1], v4, v2, s[0:1]
; %bb.12:
	s_or_b64 exec, exec, s[4:5]
	v_mov_b32_dpp v3, v3 row_bcast:31 row_mask:0xf bank_mask:0xf
	v_add_co_u32_e64 v3, s[0:1], v1, v3
	v_addc_co_u32_e64 v7, s[0:1], 0, v2, s[0:1]
	v_mov_b32_dpp v4, v2 row_bcast:31 row_mask:0xf bank_mask:0xf
	v_add_co_u32_e64 v3, s[0:1], 0, v3
	v_addc_co_u32_e64 v4, s[0:1], v7, v4, s[0:1]
	v_cmp_lt_u32_e64 s[0:1], 31, v6
	v_cndmask_b32_e64 v1, v1, v3, s[0:1]
	v_or_b32_e32 v3, 63, v0
	v_cndmask_b32_e64 v2, v2, v4, s[0:1]
	v_lshrrev_b32_e32 v7, 6, v0
	v_cmp_eq_u32_e64 s[0:1], v0, v3
	s_and_saveexec_b64 s[4:5], s[0:1]
; %bb.13:
	v_lshlrev_b32_e32 v3, 3, v7
	ds_write_b64 v3, v[1:2]
; %bb.14:
	s_or_b64 exec, exec, s[4:5]
	v_cmp_gt_u32_e64 s[0:1], 4, v0
	s_waitcnt lgkmcnt(0)
	s_barrier
	s_and_saveexec_b64 s[4:5], s[0:1]
	s_cbranch_execz .LBB11_18
; %bb.15:
	ds_read_b64 v[3:4], v5
	v_and_b32_e32 v8, 3, v6
	v_cmp_ne_u32_e64 s[0:1], 0, v8
	s_waitcnt lgkmcnt(0)
	v_mov_b32_dpp v11, v3 row_shr:1 row_mask:0xf bank_mask:0xf
	v_mov_b32_dpp v10, v4 row_shr:1 row_mask:0xf bank_mask:0xf
	v_mov_b32_e32 v9, v3
	s_and_saveexec_b64 s[6:7], s[0:1]
; %bb.16:
	v_add_co_u32_e64 v9, s[0:1], v3, v11
	v_addc_co_u32_e64 v4, s[0:1], 0, v4, s[0:1]
	v_add_co_u32_e64 v3, s[0:1], 0, v9
	v_addc_co_u32_e64 v4, s[0:1], v10, v4, s[0:1]
; %bb.17:
	s_or_b64 exec, exec, s[6:7]
	v_mov_b32_dpp v9, v9 row_shr:2 row_mask:0xf bank_mask:0xf
	v_cmp_lt_u32_e64 s[0:1], 1, v8
	v_mov_b32_dpp v10, v4 row_shr:2 row_mask:0xf bank_mask:0xf
	v_cndmask_b32_e64 v9, 0, v9, s[0:1]
	v_cndmask_b32_e64 v8, 0, v10, s[0:1]
	v_add_co_u32_e64 v3, s[0:1], v9, v3
	v_addc_co_u32_e64 v4, s[0:1], v8, v4, s[0:1]
	ds_write_b64 v5, v[3:4]
.LBB11_18:
	s_or_b64 exec, exec, s[4:5]
	v_mov_b32_e32 v3, 0
	v_mov_b32_e32 v4, 0
	v_cmp_lt_u32_e64 s[0:1], 63, v0
	s_waitcnt lgkmcnt(0)
	s_barrier
	s_and_saveexec_b64 s[4:5], s[0:1]
; %bb.19:
	v_lshl_add_u32 v0, v7, 3, -8
	ds_read_b64 v[3:4], v0
; %bb.20:
	s_or_b64 exec, exec, s[4:5]
	s_waitcnt lgkmcnt(0)
	v_add_co_u32_e64 v0, s[0:1], v3, v1
	v_addc_co_u32_e64 v1, s[0:1], v4, v2, s[0:1]
	v_add_u32_e32 v2, -1, v6
	v_and_b32_e32 v7, 64, v6
	v_cmp_lt_i32_e64 s[0:1], v2, v7
	v_cndmask_b32_e64 v2, v2, v6, s[0:1]
	v_lshlrev_b32_e32 v2, 2, v2
	ds_bpermute_b32 v0, v2, v0
	ds_bpermute_b32 v1, v2, v1
	s_and_saveexec_b64 s[0:1], vcc
	s_cbranch_execz .LBB11_22
; %bb.21:
	v_cmp_eq_u32_e32 vcc, 0, v6
	s_waitcnt lgkmcnt(0)
	v_cndmask_b32_e32 v1, v1, v4, vcc
	v_cndmask_b32_e32 v0, v0, v3, vcc
	global_store_dwordx2 v5, v[0:1], s[2:3]
.LBB11_22:
	s_endpgm
	.section	.rodata,"a",@progbits
	.p2align	6, 0x0
	.amdhsa_kernel _ZN7rocprim17ROCPRIM_304000_NS6detail31onesweep_scan_histograms_kernelINS1_34wrapped_radix_sort_onesweep_configINS0_14default_configEtN2at4cuda3cub6detail10OpaqueTypeILi8EEEEEmEEvPT0_
		.amdhsa_group_segment_fixed_size 32
		.amdhsa_private_segment_fixed_size 0
		.amdhsa_kernarg_size 8
		.amdhsa_user_sgpr_count 6
		.amdhsa_user_sgpr_private_segment_buffer 1
		.amdhsa_user_sgpr_dispatch_ptr 0
		.amdhsa_user_sgpr_queue_ptr 0
		.amdhsa_user_sgpr_kernarg_segment_ptr 1
		.amdhsa_user_sgpr_dispatch_id 0
		.amdhsa_user_sgpr_flat_scratch_init 0
		.amdhsa_user_sgpr_private_segment_size 0
		.amdhsa_uses_dynamic_stack 0
		.amdhsa_system_sgpr_private_segment_wavefront_offset 0
		.amdhsa_system_sgpr_workgroup_id_x 1
		.amdhsa_system_sgpr_workgroup_id_y 0
		.amdhsa_system_sgpr_workgroup_id_z 0
		.amdhsa_system_sgpr_workgroup_info 0
		.amdhsa_system_vgpr_workitem_id 0
		.amdhsa_next_free_vgpr 12
		.amdhsa_next_free_sgpr 8
		.amdhsa_reserve_vcc 1
		.amdhsa_reserve_flat_scratch 0
		.amdhsa_float_round_mode_32 0
		.amdhsa_float_round_mode_16_64 0
		.amdhsa_float_denorm_mode_32 3
		.amdhsa_float_denorm_mode_16_64 3
		.amdhsa_dx10_clamp 1
		.amdhsa_ieee_mode 1
		.amdhsa_fp16_overflow 0
		.amdhsa_exception_fp_ieee_invalid_op 0
		.amdhsa_exception_fp_denorm_src 0
		.amdhsa_exception_fp_ieee_div_zero 0
		.amdhsa_exception_fp_ieee_overflow 0
		.amdhsa_exception_fp_ieee_underflow 0
		.amdhsa_exception_fp_ieee_inexact 0
		.amdhsa_exception_int_div_zero 0
	.end_amdhsa_kernel
	.section	.text._ZN7rocprim17ROCPRIM_304000_NS6detail31onesweep_scan_histograms_kernelINS1_34wrapped_radix_sort_onesweep_configINS0_14default_configEtN2at4cuda3cub6detail10OpaqueTypeILi8EEEEEmEEvPT0_,"axG",@progbits,_ZN7rocprim17ROCPRIM_304000_NS6detail31onesweep_scan_histograms_kernelINS1_34wrapped_radix_sort_onesweep_configINS0_14default_configEtN2at4cuda3cub6detail10OpaqueTypeILi8EEEEEmEEvPT0_,comdat
.Lfunc_end11:
	.size	_ZN7rocprim17ROCPRIM_304000_NS6detail31onesweep_scan_histograms_kernelINS1_34wrapped_radix_sort_onesweep_configINS0_14default_configEtN2at4cuda3cub6detail10OpaqueTypeILi8EEEEEmEEvPT0_, .Lfunc_end11-_ZN7rocprim17ROCPRIM_304000_NS6detail31onesweep_scan_histograms_kernelINS1_34wrapped_radix_sort_onesweep_configINS0_14default_configEtN2at4cuda3cub6detail10OpaqueTypeILi8EEEEEmEEvPT0_
                                        ; -- End function
	.set _ZN7rocprim17ROCPRIM_304000_NS6detail31onesweep_scan_histograms_kernelINS1_34wrapped_radix_sort_onesweep_configINS0_14default_configEtN2at4cuda3cub6detail10OpaqueTypeILi8EEEEEmEEvPT0_.num_vgpr, 12
	.set _ZN7rocprim17ROCPRIM_304000_NS6detail31onesweep_scan_histograms_kernelINS1_34wrapped_radix_sort_onesweep_configINS0_14default_configEtN2at4cuda3cub6detail10OpaqueTypeILi8EEEEEmEEvPT0_.num_agpr, 0
	.set _ZN7rocprim17ROCPRIM_304000_NS6detail31onesweep_scan_histograms_kernelINS1_34wrapped_radix_sort_onesweep_configINS0_14default_configEtN2at4cuda3cub6detail10OpaqueTypeILi8EEEEEmEEvPT0_.numbered_sgpr, 8
	.set _ZN7rocprim17ROCPRIM_304000_NS6detail31onesweep_scan_histograms_kernelINS1_34wrapped_radix_sort_onesweep_configINS0_14default_configEtN2at4cuda3cub6detail10OpaqueTypeILi8EEEEEmEEvPT0_.num_named_barrier, 0
	.set _ZN7rocprim17ROCPRIM_304000_NS6detail31onesweep_scan_histograms_kernelINS1_34wrapped_radix_sort_onesweep_configINS0_14default_configEtN2at4cuda3cub6detail10OpaqueTypeILi8EEEEEmEEvPT0_.private_seg_size, 0
	.set _ZN7rocprim17ROCPRIM_304000_NS6detail31onesweep_scan_histograms_kernelINS1_34wrapped_radix_sort_onesweep_configINS0_14default_configEtN2at4cuda3cub6detail10OpaqueTypeILi8EEEEEmEEvPT0_.uses_vcc, 1
	.set _ZN7rocprim17ROCPRIM_304000_NS6detail31onesweep_scan_histograms_kernelINS1_34wrapped_radix_sort_onesweep_configINS0_14default_configEtN2at4cuda3cub6detail10OpaqueTypeILi8EEEEEmEEvPT0_.uses_flat_scratch, 0
	.set _ZN7rocprim17ROCPRIM_304000_NS6detail31onesweep_scan_histograms_kernelINS1_34wrapped_radix_sort_onesweep_configINS0_14default_configEtN2at4cuda3cub6detail10OpaqueTypeILi8EEEEEmEEvPT0_.has_dyn_sized_stack, 0
	.set _ZN7rocprim17ROCPRIM_304000_NS6detail31onesweep_scan_histograms_kernelINS1_34wrapped_radix_sort_onesweep_configINS0_14default_configEtN2at4cuda3cub6detail10OpaqueTypeILi8EEEEEmEEvPT0_.has_recursion, 0
	.set _ZN7rocprim17ROCPRIM_304000_NS6detail31onesweep_scan_histograms_kernelINS1_34wrapped_radix_sort_onesweep_configINS0_14default_configEtN2at4cuda3cub6detail10OpaqueTypeILi8EEEEEmEEvPT0_.has_indirect_call, 0
	.section	.AMDGPU.csdata,"",@progbits
; Kernel info:
; codeLenInByte = 848
; TotalNumSgprs: 12
; NumVgprs: 12
; ScratchSize: 0
; MemoryBound: 0
; FloatMode: 240
; IeeeMode: 1
; LDSByteSize: 32 bytes/workgroup (compile time only)
; SGPRBlocks: 1
; VGPRBlocks: 2
; NumSGPRsForWavesPerEU: 12
; NumVGPRsForWavesPerEU: 12
; Occupancy: 10
; WaveLimiterHint : 0
; COMPUTE_PGM_RSRC2:SCRATCH_EN: 0
; COMPUTE_PGM_RSRC2:USER_SGPR: 6
; COMPUTE_PGM_RSRC2:TRAP_HANDLER: 0
; COMPUTE_PGM_RSRC2:TGID_X_EN: 1
; COMPUTE_PGM_RSRC2:TGID_Y_EN: 0
; COMPUTE_PGM_RSRC2:TGID_Z_EN: 0
; COMPUTE_PGM_RSRC2:TIDIG_COMP_CNT: 0
	.section	.text._ZN7rocprim17ROCPRIM_304000_NS6detail16transform_kernelINS1_24wrapped_transform_configINS0_14default_configEtEEtPKtPtNS0_8identityItEEEEvT1_mT2_T3_,"axG",@progbits,_ZN7rocprim17ROCPRIM_304000_NS6detail16transform_kernelINS1_24wrapped_transform_configINS0_14default_configEtEEtPKtPtNS0_8identityItEEEEvT1_mT2_T3_,comdat
	.protected	_ZN7rocprim17ROCPRIM_304000_NS6detail16transform_kernelINS1_24wrapped_transform_configINS0_14default_configEtEEtPKtPtNS0_8identityItEEEEvT1_mT2_T3_ ; -- Begin function _ZN7rocprim17ROCPRIM_304000_NS6detail16transform_kernelINS1_24wrapped_transform_configINS0_14default_configEtEEtPKtPtNS0_8identityItEEEEvT1_mT2_T3_
	.globl	_ZN7rocprim17ROCPRIM_304000_NS6detail16transform_kernelINS1_24wrapped_transform_configINS0_14default_configEtEEtPKtPtNS0_8identityItEEEEvT1_mT2_T3_
	.p2align	8
	.type	_ZN7rocprim17ROCPRIM_304000_NS6detail16transform_kernelINS1_24wrapped_transform_configINS0_14default_configEtEEtPKtPtNS0_8identityItEEEEvT1_mT2_T3_,@function
_ZN7rocprim17ROCPRIM_304000_NS6detail16transform_kernelINS1_24wrapped_transform_configINS0_14default_configEtEEtPKtPtNS0_8identityItEEEEvT1_mT2_T3_: ; @_ZN7rocprim17ROCPRIM_304000_NS6detail16transform_kernelINS1_24wrapped_transform_configINS0_14default_configEtEEtPKtPtNS0_8identityItEEEEvT1_mT2_T3_
; %bb.0:
	s_load_dword s7, s[4:5], 0x20
	s_load_dwordx4 s[0:3], s[4:5], 0x0
	s_load_dwordx2 s[8:9], s[4:5], 0x10
	s_lshl_b32 s4, s6, 11
	s_mov_b32 s5, 0
	s_waitcnt lgkmcnt(0)
	s_add_i32 s7, s7, -1
	s_lshl_b64 s[10:11], s[4:5], 1
	s_add_u32 s0, s0, s10
	s_addc_u32 s1, s1, s11
	v_lshlrev_b32_e32 v5, 1, v0
	v_mov_b32_e32 v1, s1
	v_add_co_u32_e32 v3, vcc, s0, v5
	s_cmp_lg_u32 s6, s7
	v_addc_co_u32_e32 v4, vcc, 0, v1, vcc
	s_cbranch_scc0 .LBB12_2
; %bb.1:
	global_load_ushort v2, v[3:4], off
	global_load_ushort v6, v[3:4], off offset:1024
	global_load_ushort v7, v[3:4], off offset:2048
	;; [unrolled: 1-line block ×3, first 2 shown]
	s_add_u32 s6, s8, s10
	s_addc_u32 s7, s9, s11
	s_mov_b64 s[12:13], -1
	s_waitcnt vmcnt(3)
	global_store_short v5, v2, s[6:7]
	s_waitcnt vmcnt(3)
	global_store_short v5, v6, s[6:7] offset:1024
	s_waitcnt vmcnt(3)
	global_store_short v5, v7, s[6:7] offset:2048
	s_cbranch_execz .LBB12_3
	s_branch .LBB12_17
.LBB12_2:
	s_mov_b64 s[12:13], 0
                                        ; implicit-def: $vgpr1
.LBB12_3:
	s_sub_i32 s6, s2, s4
	s_waitcnt vmcnt(3)
	v_mov_b32_e32 v1, 0
	v_cmp_gt_u32_e32 vcc, s6, v0
	v_mov_b32_e32 v2, v1
	s_and_saveexec_b64 s[0:1], vcc
	s_cbranch_execz .LBB12_5
; %bb.4:
	global_load_ushort v2, v[3:4], off
	v_mov_b32_e32 v7, v1
	s_waitcnt vmcnt(0)
	v_and_b32_e32 v6, 0xffff, v2
	v_mov_b32_e32 v1, v6
	v_mov_b32_e32 v2, v7
.LBB12_5:
	s_or_b64 exec, exec, s[0:1]
	v_or_b32_e32 v6, 0x200, v0
	v_cmp_gt_u32_e64 s[0:1], s6, v6
	s_and_saveexec_b64 s[2:3], s[0:1]
	s_cbranch_execz .LBB12_7
; %bb.6:
	global_load_ushort v6, v[3:4], off offset:1024
	s_mov_b32 s4, 0x5040100
	s_waitcnt vmcnt(0)
	v_perm_b32 v1, v6, v1, s4
.LBB12_7:
	s_or_b64 exec, exec, s[2:3]
	v_or_b32_e32 v6, 0x400, v0
	v_cmp_gt_u32_e64 s[2:3], s6, v6
	s_and_saveexec_b64 s[4:5], s[2:3]
	s_cbranch_execz .LBB12_9
; %bb.8:
	global_load_ushort v6, v[3:4], off offset:2048
	s_mov_b32 s7, 0xffff
	s_waitcnt vmcnt(0)
	v_bfi_b32 v2, s7, v6, v2
.LBB12_9:
	s_or_b64 exec, exec, s[4:5]
	v_or_b32_e32 v0, 0x600, v0
	v_cmp_gt_u32_e64 s[4:5], s6, v0
	s_and_saveexec_b64 s[6:7], s[4:5]
	s_cbranch_execz .LBB12_11
; %bb.10:
	global_load_ushort v0, v[3:4], off offset:3072
	s_mov_b32 s14, 0x5040100
	s_waitcnt vmcnt(0)
	v_perm_b32 v2, v0, v2, s14
.LBB12_11:
	s_or_b64 exec, exec, s[6:7]
	s_add_u32 s6, s8, s10
	s_addc_u32 s7, s9, s11
	v_mov_b32_e32 v0, 0
	v_mov_b32_e32 v4, s7
	v_add_co_u32_e64 v3, s[6:7], s6, v5
	v_cndmask_b32_sdwa v0, v0, v1, vcc dst_sel:DWORD dst_unused:UNUSED_PAD src0_sel:DWORD src1_sel:WORD_0
	v_addc_co_u32_e64 v4, s[6:7], 0, v4, s[6:7]
	s_and_saveexec_b64 s[6:7], vcc
	s_cbranch_execnz .LBB12_20
; %bb.12:
	s_or_b64 exec, exec, s[6:7]
	v_cndmask_b32_e64 v0, v0, v1, s[0:1]
	s_and_saveexec_b64 s[6:7], s[0:1]
	s_cbranch_execnz .LBB12_21
.LBB12_13:
	s_or_b64 exec, exec, s[6:7]
	s_and_saveexec_b64 s[0:1], s[2:3]
	s_cbranch_execnz .LBB12_22
.LBB12_14:
	s_or_b64 exec, exec, s[0:1]
                                        ; implicit-def: $vgpr1
	s_and_saveexec_b64 s[0:1], s[4:5]
.LBB12_15:
	v_cndmask_b32_e64 v0, 0, v2, s[4:5]
	v_lshrrev_b32_e32 v1, 16, v0
	s_or_b64 s[12:13], s[12:13], exec
.LBB12_16:
	s_or_b64 exec, exec, s[0:1]
.LBB12_17:
	s_and_saveexec_b64 s[0:1], s[12:13]
	s_cbranch_execnz .LBB12_19
; %bb.18:
	s_endpgm
.LBB12_19:
	s_add_u32 s0, s8, s10
	s_addc_u32 s1, s9, s11
	s_waitcnt vmcnt(3)
	global_store_short v5, v1, s[0:1] offset:3072
	s_endpgm
.LBB12_20:
	global_store_short v[3:4], v0, off
	s_or_b64 exec, exec, s[6:7]
	v_cndmask_b32_e64 v0, v0, v1, s[0:1]
	s_and_saveexec_b64 s[6:7], s[0:1]
	s_cbranch_execz .LBB12_13
.LBB12_21:
	global_store_short_d16_hi v[3:4], v0, off offset:1024
	s_or_b64 exec, exec, s[6:7]
	s_and_saveexec_b64 s[0:1], s[2:3]
	s_cbranch_execz .LBB12_14
.LBB12_22:
	v_cndmask_b32_e64 v0, 0, v2, s[2:3]
	global_store_short v[3:4], v0, off offset:2048
	s_or_b64 exec, exec, s[0:1]
                                        ; implicit-def: $vgpr1
	s_and_saveexec_b64 s[0:1], s[4:5]
	s_cbranch_execnz .LBB12_15
	s_branch .LBB12_16
	.section	.rodata,"a",@progbits
	.p2align	6, 0x0
	.amdhsa_kernel _ZN7rocprim17ROCPRIM_304000_NS6detail16transform_kernelINS1_24wrapped_transform_configINS0_14default_configEtEEtPKtPtNS0_8identityItEEEEvT1_mT2_T3_
		.amdhsa_group_segment_fixed_size 0
		.amdhsa_private_segment_fixed_size 0
		.amdhsa_kernarg_size 288
		.amdhsa_user_sgpr_count 6
		.amdhsa_user_sgpr_private_segment_buffer 1
		.amdhsa_user_sgpr_dispatch_ptr 0
		.amdhsa_user_sgpr_queue_ptr 0
		.amdhsa_user_sgpr_kernarg_segment_ptr 1
		.amdhsa_user_sgpr_dispatch_id 0
		.amdhsa_user_sgpr_flat_scratch_init 0
		.amdhsa_user_sgpr_private_segment_size 0
		.amdhsa_uses_dynamic_stack 0
		.amdhsa_system_sgpr_private_segment_wavefront_offset 0
		.amdhsa_system_sgpr_workgroup_id_x 1
		.amdhsa_system_sgpr_workgroup_id_y 0
		.amdhsa_system_sgpr_workgroup_id_z 0
		.amdhsa_system_sgpr_workgroup_info 0
		.amdhsa_system_vgpr_workitem_id 0
		.amdhsa_next_free_vgpr 8
		.amdhsa_next_free_sgpr 15
		.amdhsa_reserve_vcc 1
		.amdhsa_reserve_flat_scratch 0
		.amdhsa_float_round_mode_32 0
		.amdhsa_float_round_mode_16_64 0
		.amdhsa_float_denorm_mode_32 3
		.amdhsa_float_denorm_mode_16_64 3
		.amdhsa_dx10_clamp 1
		.amdhsa_ieee_mode 1
		.amdhsa_fp16_overflow 0
		.amdhsa_exception_fp_ieee_invalid_op 0
		.amdhsa_exception_fp_denorm_src 0
		.amdhsa_exception_fp_ieee_div_zero 0
		.amdhsa_exception_fp_ieee_overflow 0
		.amdhsa_exception_fp_ieee_underflow 0
		.amdhsa_exception_fp_ieee_inexact 0
		.amdhsa_exception_int_div_zero 0
	.end_amdhsa_kernel
	.section	.text._ZN7rocprim17ROCPRIM_304000_NS6detail16transform_kernelINS1_24wrapped_transform_configINS0_14default_configEtEEtPKtPtNS0_8identityItEEEEvT1_mT2_T3_,"axG",@progbits,_ZN7rocprim17ROCPRIM_304000_NS6detail16transform_kernelINS1_24wrapped_transform_configINS0_14default_configEtEEtPKtPtNS0_8identityItEEEEvT1_mT2_T3_,comdat
.Lfunc_end12:
	.size	_ZN7rocprim17ROCPRIM_304000_NS6detail16transform_kernelINS1_24wrapped_transform_configINS0_14default_configEtEEtPKtPtNS0_8identityItEEEEvT1_mT2_T3_, .Lfunc_end12-_ZN7rocprim17ROCPRIM_304000_NS6detail16transform_kernelINS1_24wrapped_transform_configINS0_14default_configEtEEtPKtPtNS0_8identityItEEEEvT1_mT2_T3_
                                        ; -- End function
	.set _ZN7rocprim17ROCPRIM_304000_NS6detail16transform_kernelINS1_24wrapped_transform_configINS0_14default_configEtEEtPKtPtNS0_8identityItEEEEvT1_mT2_T3_.num_vgpr, 8
	.set _ZN7rocprim17ROCPRIM_304000_NS6detail16transform_kernelINS1_24wrapped_transform_configINS0_14default_configEtEEtPKtPtNS0_8identityItEEEEvT1_mT2_T3_.num_agpr, 0
	.set _ZN7rocprim17ROCPRIM_304000_NS6detail16transform_kernelINS1_24wrapped_transform_configINS0_14default_configEtEEtPKtPtNS0_8identityItEEEEvT1_mT2_T3_.numbered_sgpr, 15
	.set _ZN7rocprim17ROCPRIM_304000_NS6detail16transform_kernelINS1_24wrapped_transform_configINS0_14default_configEtEEtPKtPtNS0_8identityItEEEEvT1_mT2_T3_.num_named_barrier, 0
	.set _ZN7rocprim17ROCPRIM_304000_NS6detail16transform_kernelINS1_24wrapped_transform_configINS0_14default_configEtEEtPKtPtNS0_8identityItEEEEvT1_mT2_T3_.private_seg_size, 0
	.set _ZN7rocprim17ROCPRIM_304000_NS6detail16transform_kernelINS1_24wrapped_transform_configINS0_14default_configEtEEtPKtPtNS0_8identityItEEEEvT1_mT2_T3_.uses_vcc, 1
	.set _ZN7rocprim17ROCPRIM_304000_NS6detail16transform_kernelINS1_24wrapped_transform_configINS0_14default_configEtEEtPKtPtNS0_8identityItEEEEvT1_mT2_T3_.uses_flat_scratch, 0
	.set _ZN7rocprim17ROCPRIM_304000_NS6detail16transform_kernelINS1_24wrapped_transform_configINS0_14default_configEtEEtPKtPtNS0_8identityItEEEEvT1_mT2_T3_.has_dyn_sized_stack, 0
	.set _ZN7rocprim17ROCPRIM_304000_NS6detail16transform_kernelINS1_24wrapped_transform_configINS0_14default_configEtEEtPKtPtNS0_8identityItEEEEvT1_mT2_T3_.has_recursion, 0
	.set _ZN7rocprim17ROCPRIM_304000_NS6detail16transform_kernelINS1_24wrapped_transform_configINS0_14default_configEtEEtPKtPtNS0_8identityItEEEEvT1_mT2_T3_.has_indirect_call, 0
	.section	.AMDGPU.csdata,"",@progbits
; Kernel info:
; codeLenInByte = 624
; TotalNumSgprs: 19
; NumVgprs: 8
; ScratchSize: 0
; MemoryBound: 0
; FloatMode: 240
; IeeeMode: 1
; LDSByteSize: 0 bytes/workgroup (compile time only)
; SGPRBlocks: 2
; VGPRBlocks: 1
; NumSGPRsForWavesPerEU: 19
; NumVGPRsForWavesPerEU: 8
; Occupancy: 10
; WaveLimiterHint : 1
; COMPUTE_PGM_RSRC2:SCRATCH_EN: 0
; COMPUTE_PGM_RSRC2:USER_SGPR: 6
; COMPUTE_PGM_RSRC2:TRAP_HANDLER: 0
; COMPUTE_PGM_RSRC2:TGID_X_EN: 1
; COMPUTE_PGM_RSRC2:TGID_Y_EN: 0
; COMPUTE_PGM_RSRC2:TGID_Z_EN: 0
; COMPUTE_PGM_RSRC2:TIDIG_COMP_CNT: 0
	.section	.text._ZN7rocprim17ROCPRIM_304000_NS6detail16transform_kernelINS1_24wrapped_transform_configINS0_14default_configEN2at4cuda3cub6detail10OpaqueTypeILi8EEEEESA_PKSA_PSA_NS0_8identityISA_EEEEvT1_mT2_T3_,"axG",@progbits,_ZN7rocprim17ROCPRIM_304000_NS6detail16transform_kernelINS1_24wrapped_transform_configINS0_14default_configEN2at4cuda3cub6detail10OpaqueTypeILi8EEEEESA_PKSA_PSA_NS0_8identityISA_EEEEvT1_mT2_T3_,comdat
	.protected	_ZN7rocprim17ROCPRIM_304000_NS6detail16transform_kernelINS1_24wrapped_transform_configINS0_14default_configEN2at4cuda3cub6detail10OpaqueTypeILi8EEEEESA_PKSA_PSA_NS0_8identityISA_EEEEvT1_mT2_T3_ ; -- Begin function _ZN7rocprim17ROCPRIM_304000_NS6detail16transform_kernelINS1_24wrapped_transform_configINS0_14default_configEN2at4cuda3cub6detail10OpaqueTypeILi8EEEEESA_PKSA_PSA_NS0_8identityISA_EEEEvT1_mT2_T3_
	.globl	_ZN7rocprim17ROCPRIM_304000_NS6detail16transform_kernelINS1_24wrapped_transform_configINS0_14default_configEN2at4cuda3cub6detail10OpaqueTypeILi8EEEEESA_PKSA_PSA_NS0_8identityISA_EEEEvT1_mT2_T3_
	.p2align	8
	.type	_ZN7rocprim17ROCPRIM_304000_NS6detail16transform_kernelINS1_24wrapped_transform_configINS0_14default_configEN2at4cuda3cub6detail10OpaqueTypeILi8EEEEESA_PKSA_PSA_NS0_8identityISA_EEEEvT1_mT2_T3_,@function
_ZN7rocprim17ROCPRIM_304000_NS6detail16transform_kernelINS1_24wrapped_transform_configINS0_14default_configEN2at4cuda3cub6detail10OpaqueTypeILi8EEEEESA_PKSA_PSA_NS0_8identityISA_EEEEvT1_mT2_T3_: ; @_ZN7rocprim17ROCPRIM_304000_NS6detail16transform_kernelINS1_24wrapped_transform_configINS0_14default_configEN2at4cuda3cub6detail10OpaqueTypeILi8EEEEESA_PKSA_PSA_NS0_8identityISA_EEEEvT1_mT2_T3_
; %bb.0:
	s_load_dword s7, s[4:5], 0x20
	s_load_dwordx4 s[0:3], s[4:5], 0x0
	s_lshl_b32 s8, s6, 9
	s_waitcnt lgkmcnt(0)
	s_add_i32 s7, s7, -1
	s_cmp_lg_u32 s6, s7
	s_cselect_b64 s[6:7], -1, 0
	s_sub_i32 s2, s2, s8
	v_cmp_gt_u32_e32 vcc, s2, v0
	s_or_b64 s[2:3], vcc, s[6:7]
	s_and_saveexec_b64 s[6:7], s[2:3]
	s_cbranch_execz .LBB13_2
; %bb.1:
	s_load_dwordx2 s[2:3], s[4:5], 0x10
	s_mov_b32 s9, 0
	s_lshl_b64 s[4:5], s[8:9], 3
	v_lshlrev_b32_e32 v2, 3, v0
	s_waitcnt lgkmcnt(0)
	s_add_u32 s2, s2, s4
	s_addc_u32 s3, s3, s5
	s_add_u32 s0, s0, s4
	s_addc_u32 s1, s1, s5
	global_load_dwordx2 v[0:1], v2, s[0:1]
	s_waitcnt vmcnt(0)
	global_store_dwordx2 v2, v[0:1], s[2:3]
.LBB13_2:
	s_endpgm
	.section	.rodata,"a",@progbits
	.p2align	6, 0x0
	.amdhsa_kernel _ZN7rocprim17ROCPRIM_304000_NS6detail16transform_kernelINS1_24wrapped_transform_configINS0_14default_configEN2at4cuda3cub6detail10OpaqueTypeILi8EEEEESA_PKSA_PSA_NS0_8identityISA_EEEEvT1_mT2_T3_
		.amdhsa_group_segment_fixed_size 0
		.amdhsa_private_segment_fixed_size 0
		.amdhsa_kernarg_size 288
		.amdhsa_user_sgpr_count 6
		.amdhsa_user_sgpr_private_segment_buffer 1
		.amdhsa_user_sgpr_dispatch_ptr 0
		.amdhsa_user_sgpr_queue_ptr 0
		.amdhsa_user_sgpr_kernarg_segment_ptr 1
		.amdhsa_user_sgpr_dispatch_id 0
		.amdhsa_user_sgpr_flat_scratch_init 0
		.amdhsa_user_sgpr_private_segment_size 0
		.amdhsa_uses_dynamic_stack 0
		.amdhsa_system_sgpr_private_segment_wavefront_offset 0
		.amdhsa_system_sgpr_workgroup_id_x 1
		.amdhsa_system_sgpr_workgroup_id_y 0
		.amdhsa_system_sgpr_workgroup_id_z 0
		.amdhsa_system_sgpr_workgroup_info 0
		.amdhsa_system_vgpr_workitem_id 0
		.amdhsa_next_free_vgpr 3
		.amdhsa_next_free_sgpr 10
		.amdhsa_reserve_vcc 1
		.amdhsa_reserve_flat_scratch 0
		.amdhsa_float_round_mode_32 0
		.amdhsa_float_round_mode_16_64 0
		.amdhsa_float_denorm_mode_32 3
		.amdhsa_float_denorm_mode_16_64 3
		.amdhsa_dx10_clamp 1
		.amdhsa_ieee_mode 1
		.amdhsa_fp16_overflow 0
		.amdhsa_exception_fp_ieee_invalid_op 0
		.amdhsa_exception_fp_denorm_src 0
		.amdhsa_exception_fp_ieee_div_zero 0
		.amdhsa_exception_fp_ieee_overflow 0
		.amdhsa_exception_fp_ieee_underflow 0
		.amdhsa_exception_fp_ieee_inexact 0
		.amdhsa_exception_int_div_zero 0
	.end_amdhsa_kernel
	.section	.text._ZN7rocprim17ROCPRIM_304000_NS6detail16transform_kernelINS1_24wrapped_transform_configINS0_14default_configEN2at4cuda3cub6detail10OpaqueTypeILi8EEEEESA_PKSA_PSA_NS0_8identityISA_EEEEvT1_mT2_T3_,"axG",@progbits,_ZN7rocprim17ROCPRIM_304000_NS6detail16transform_kernelINS1_24wrapped_transform_configINS0_14default_configEN2at4cuda3cub6detail10OpaqueTypeILi8EEEEESA_PKSA_PSA_NS0_8identityISA_EEEEvT1_mT2_T3_,comdat
.Lfunc_end13:
	.size	_ZN7rocprim17ROCPRIM_304000_NS6detail16transform_kernelINS1_24wrapped_transform_configINS0_14default_configEN2at4cuda3cub6detail10OpaqueTypeILi8EEEEESA_PKSA_PSA_NS0_8identityISA_EEEEvT1_mT2_T3_, .Lfunc_end13-_ZN7rocprim17ROCPRIM_304000_NS6detail16transform_kernelINS1_24wrapped_transform_configINS0_14default_configEN2at4cuda3cub6detail10OpaqueTypeILi8EEEEESA_PKSA_PSA_NS0_8identityISA_EEEEvT1_mT2_T3_
                                        ; -- End function
	.set _ZN7rocprim17ROCPRIM_304000_NS6detail16transform_kernelINS1_24wrapped_transform_configINS0_14default_configEN2at4cuda3cub6detail10OpaqueTypeILi8EEEEESA_PKSA_PSA_NS0_8identityISA_EEEEvT1_mT2_T3_.num_vgpr, 3
	.set _ZN7rocprim17ROCPRIM_304000_NS6detail16transform_kernelINS1_24wrapped_transform_configINS0_14default_configEN2at4cuda3cub6detail10OpaqueTypeILi8EEEEESA_PKSA_PSA_NS0_8identityISA_EEEEvT1_mT2_T3_.num_agpr, 0
	.set _ZN7rocprim17ROCPRIM_304000_NS6detail16transform_kernelINS1_24wrapped_transform_configINS0_14default_configEN2at4cuda3cub6detail10OpaqueTypeILi8EEEEESA_PKSA_PSA_NS0_8identityISA_EEEEvT1_mT2_T3_.numbered_sgpr, 10
	.set _ZN7rocprim17ROCPRIM_304000_NS6detail16transform_kernelINS1_24wrapped_transform_configINS0_14default_configEN2at4cuda3cub6detail10OpaqueTypeILi8EEEEESA_PKSA_PSA_NS0_8identityISA_EEEEvT1_mT2_T3_.num_named_barrier, 0
	.set _ZN7rocprim17ROCPRIM_304000_NS6detail16transform_kernelINS1_24wrapped_transform_configINS0_14default_configEN2at4cuda3cub6detail10OpaqueTypeILi8EEEEESA_PKSA_PSA_NS0_8identityISA_EEEEvT1_mT2_T3_.private_seg_size, 0
	.set _ZN7rocprim17ROCPRIM_304000_NS6detail16transform_kernelINS1_24wrapped_transform_configINS0_14default_configEN2at4cuda3cub6detail10OpaqueTypeILi8EEEEESA_PKSA_PSA_NS0_8identityISA_EEEEvT1_mT2_T3_.uses_vcc, 1
	.set _ZN7rocprim17ROCPRIM_304000_NS6detail16transform_kernelINS1_24wrapped_transform_configINS0_14default_configEN2at4cuda3cub6detail10OpaqueTypeILi8EEEEESA_PKSA_PSA_NS0_8identityISA_EEEEvT1_mT2_T3_.uses_flat_scratch, 0
	.set _ZN7rocprim17ROCPRIM_304000_NS6detail16transform_kernelINS1_24wrapped_transform_configINS0_14default_configEN2at4cuda3cub6detail10OpaqueTypeILi8EEEEESA_PKSA_PSA_NS0_8identityISA_EEEEvT1_mT2_T3_.has_dyn_sized_stack, 0
	.set _ZN7rocprim17ROCPRIM_304000_NS6detail16transform_kernelINS1_24wrapped_transform_configINS0_14default_configEN2at4cuda3cub6detail10OpaqueTypeILi8EEEEESA_PKSA_PSA_NS0_8identityISA_EEEEvT1_mT2_T3_.has_recursion, 0
	.set _ZN7rocprim17ROCPRIM_304000_NS6detail16transform_kernelINS1_24wrapped_transform_configINS0_14default_configEN2at4cuda3cub6detail10OpaqueTypeILi8EEEEESA_PKSA_PSA_NS0_8identityISA_EEEEvT1_mT2_T3_.has_indirect_call, 0
	.section	.AMDGPU.csdata,"",@progbits
; Kernel info:
; codeLenInByte = 120
; TotalNumSgprs: 14
; NumVgprs: 3
; ScratchSize: 0
; MemoryBound: 0
; FloatMode: 240
; IeeeMode: 1
; LDSByteSize: 0 bytes/workgroup (compile time only)
; SGPRBlocks: 1
; VGPRBlocks: 0
; NumSGPRsForWavesPerEU: 14
; NumVGPRsForWavesPerEU: 3
; Occupancy: 10
; WaveLimiterHint : 0
; COMPUTE_PGM_RSRC2:SCRATCH_EN: 0
; COMPUTE_PGM_RSRC2:USER_SGPR: 6
; COMPUTE_PGM_RSRC2:TRAP_HANDLER: 0
; COMPUTE_PGM_RSRC2:TGID_X_EN: 1
; COMPUTE_PGM_RSRC2:TGID_Y_EN: 0
; COMPUTE_PGM_RSRC2:TGID_Z_EN: 0
; COMPUTE_PGM_RSRC2:TIDIG_COMP_CNT: 0
	.section	.text._ZN7rocprim17ROCPRIM_304000_NS6detail25onesweep_iteration_kernelINS1_34wrapped_radix_sort_onesweep_configINS0_14default_configEtN2at4cuda3cub6detail10OpaqueTypeILi8EEEEELb1EPKtPtPKSA_PSA_mNS0_19identity_decomposerEEEvT1_T2_T3_T4_jPT5_SO_PNS1_23onesweep_lookback_stateET6_jjj,"axG",@progbits,_ZN7rocprim17ROCPRIM_304000_NS6detail25onesweep_iteration_kernelINS1_34wrapped_radix_sort_onesweep_configINS0_14default_configEtN2at4cuda3cub6detail10OpaqueTypeILi8EEEEELb1EPKtPtPKSA_PSA_mNS0_19identity_decomposerEEEvT1_T2_T3_T4_jPT5_SO_PNS1_23onesweep_lookback_stateET6_jjj,comdat
	.protected	_ZN7rocprim17ROCPRIM_304000_NS6detail25onesweep_iteration_kernelINS1_34wrapped_radix_sort_onesweep_configINS0_14default_configEtN2at4cuda3cub6detail10OpaqueTypeILi8EEEEELb1EPKtPtPKSA_PSA_mNS0_19identity_decomposerEEEvT1_T2_T3_T4_jPT5_SO_PNS1_23onesweep_lookback_stateET6_jjj ; -- Begin function _ZN7rocprim17ROCPRIM_304000_NS6detail25onesweep_iteration_kernelINS1_34wrapped_radix_sort_onesweep_configINS0_14default_configEtN2at4cuda3cub6detail10OpaqueTypeILi8EEEEELb1EPKtPtPKSA_PSA_mNS0_19identity_decomposerEEEvT1_T2_T3_T4_jPT5_SO_PNS1_23onesweep_lookback_stateET6_jjj
	.globl	_ZN7rocprim17ROCPRIM_304000_NS6detail25onesweep_iteration_kernelINS1_34wrapped_radix_sort_onesweep_configINS0_14default_configEtN2at4cuda3cub6detail10OpaqueTypeILi8EEEEELb1EPKtPtPKSA_PSA_mNS0_19identity_decomposerEEEvT1_T2_T3_T4_jPT5_SO_PNS1_23onesweep_lookback_stateET6_jjj
	.p2align	8
	.type	_ZN7rocprim17ROCPRIM_304000_NS6detail25onesweep_iteration_kernelINS1_34wrapped_radix_sort_onesweep_configINS0_14default_configEtN2at4cuda3cub6detail10OpaqueTypeILi8EEEEELb1EPKtPtPKSA_PSA_mNS0_19identity_decomposerEEEvT1_T2_T3_T4_jPT5_SO_PNS1_23onesweep_lookback_stateET6_jjj,@function
_ZN7rocprim17ROCPRIM_304000_NS6detail25onesweep_iteration_kernelINS1_34wrapped_radix_sort_onesweep_configINS0_14default_configEtN2at4cuda3cub6detail10OpaqueTypeILi8EEEEELb1EPKtPtPKSA_PSA_mNS0_19identity_decomposerEEEvT1_T2_T3_T4_jPT5_SO_PNS1_23onesweep_lookback_stateET6_jjj: ; @_ZN7rocprim17ROCPRIM_304000_NS6detail25onesweep_iteration_kernelINS1_34wrapped_radix_sort_onesweep_configINS0_14default_configEtN2at4cuda3cub6detail10OpaqueTypeILi8EEEEELb1EPKtPtPKSA_PSA_mNS0_19identity_decomposerEEEvT1_T2_T3_T4_jPT5_SO_PNS1_23onesweep_lookback_stateET6_jjj
; %bb.0:
	s_load_dwordx8 s[56:63], s[4:5], 0x0
	s_load_dwordx4 s[68:71], s[4:5], 0x44
	s_load_dwordx4 s[64:67], s[4:5], 0x28
	s_load_dwordx2 s[72:73], s[4:5], 0x38
	s_mov_b32 s7, s6
	s_mov_b64 s[0:1], -1
	s_waitcnt lgkmcnt(0)
	s_cmp_ge_u32 s6, s70
	s_mul_i32 s54, s6, 0xc00
	v_mbcnt_lo_u32_b32 v29, -1, 0
	s_cbranch_scc0 .LBB14_152
; %bb.1:
	s_load_dword s2, s[4:5], 0x20
	s_mulk_i32 s70, 0xf400
	s_mov_b32 s55, 0
	s_lshl_b64 s[0:1], s[54:55], 1
	v_mbcnt_hi_u32_b32 v13, -1, v29
	s_waitcnt lgkmcnt(0)
	s_add_i32 s70, s70, s2
	s_add_u32 s0, s56, s0
	s_addc_u32 s1, s57, s1
	v_and_b32_e32 v15, 0xc0, v0
	v_lshlrev_b32_e32 v4, 1, v13
	v_mul_u32_u24_e32 v14, 12, v15
	v_mov_b32_e32 v5, s1
	v_add_co_u32_e32 v4, vcc, s0, v4
	v_addc_co_u32_e32 v5, vcc, 0, v5, vcc
	v_lshlrev_b32_e32 v6, 1, v14
	v_add_co_u32_e32 v11, vcc, v4, v6
	v_mov_b32_e32 v3, 0
	v_addc_co_u32_e32 v12, vcc, 0, v5, vcc
	v_or_b32_e32 v16, v13, v14
	v_cmp_gt_u32_e32 vcc, s70, v16
	v_mov_b32_e32 v4, v3
	v_mov_b32_e32 v5, v3
	;; [unrolled: 1-line block ×5, first 2 shown]
	s_and_saveexec_b64 s[0:1], vcc
	s_cbranch_execz .LBB14_3
; %bb.2:
	global_load_ushort v4, v[11:12], off
	v_mov_b32_e32 v5, v3
	v_mov_b32_e32 v6, v3
	;; [unrolled: 1-line block ×5, first 2 shown]
	s_waitcnt vmcnt(0)
	v_and_b32_e32 v4, 0xffff, v4
	v_mov_b32_e32 v3, v4
	v_mov_b32_e32 v4, v5
	;; [unrolled: 1-line block ×8, first 2 shown]
.LBB14_3:
	s_or_b64 exec, exec, s[0:1]
	v_add_u32_e32 v9, 64, v16
	v_cmp_gt_u32_e64 s[0:1], s70, v9
	s_and_saveexec_b64 s[2:3], s[0:1]
	s_cbranch_execz .LBB14_5
; %bb.4:
	global_load_ushort v9, v[11:12], off offset:128
	s_mov_b32 s8, 0x5040100
	s_waitcnt vmcnt(0)
	v_perm_b32 v3, v9, v3, s8
.LBB14_5:
	s_or_b64 exec, exec, s[2:3]
	v_add_u32_e32 v9, 0x80, v16
	v_cmp_gt_u32_e64 s[2:3], s70, v9
	s_and_saveexec_b64 s[8:9], s[2:3]
	s_cbranch_execz .LBB14_7
; %bb.6:
	global_load_ushort v9, v[11:12], off offset:256
	s_mov_b32 s10, 0xffff
	s_waitcnt vmcnt(0)
	v_bfi_b32 v4, s10, v9, v4
.LBB14_7:
	s_or_b64 exec, exec, s[8:9]
	v_add_u32_e32 v9, 0xc0, v16
	v_cmp_gt_u32_e64 s[50:51], s70, v9
	s_and_saveexec_b64 s[8:9], s[50:51]
	s_cbranch_execz .LBB14_9
; %bb.8:
	global_load_ushort v9, v[11:12], off offset:384
	s_mov_b32 s10, 0x5040100
	s_waitcnt vmcnt(0)
	v_perm_b32 v4, v9, v4, s10
.LBB14_9:
	s_or_b64 exec, exec, s[8:9]
	v_add_u32_e32 v9, 0x100, v16
	v_cmp_gt_u32_e64 s[8:9], s70, v9
	s_and_saveexec_b64 s[10:11], s[8:9]
	s_cbranch_execz .LBB14_11
; %bb.10:
	global_load_ushort v9, v[11:12], off offset:512
	s_mov_b32 s12, 0xffff
	s_waitcnt vmcnt(0)
	v_bfi_b32 v5, s12, v9, v5
.LBB14_11:
	;; [unrolled: 22-line block ×5, first 2 shown]
	s_or_b64 exec, exec, s[22:23]
	v_add_u32_e32 v9, 0x2c0, v16
	v_cmp_gt_u32_e64 s[22:23], s70, v9
	s_and_saveexec_b64 s[24:25], s[22:23]
	s_cbranch_execz .LBB14_25
; %bb.24:
	global_load_ushort v9, v[11:12], off offset:1408
	s_mov_b32 s26, 0x5040100
	s_waitcnt vmcnt(0)
	v_perm_b32 v8, v9, v8, s26
.LBB14_25:
	s_or_b64 exec, exec, s[24:25]
	s_load_dword s24, s[4:5], 0x5c
	s_load_dword s33, s[4:5], 0x50
	s_add_u32 s25, s4, 0x50
	s_addc_u32 s26, s5, 0
	v_mov_b32_e32 v9, 0
	s_waitcnt lgkmcnt(0)
	s_lshr_b32 s27, s24, 16
	s_cmp_lt_u32 s6, s33
	s_cselect_b32 s24, 12, 18
	s_add_u32 s24, s25, s24
	s_addc_u32 s25, s26, 0
	global_load_ushort v11, v9, s[24:25]
	v_xor_b32_e32 v12, -1, v3
	s_lshl_b32 s24, -1, s69
	v_lshrrev_b32_sdwa v10, s68, v12 dst_sel:DWORD dst_unused:UNUSED_PAD src0_sel:DWORD src1_sel:WORD_0
	s_not_b32 s74, s24
	v_and_b32_e32 v18, s74, v10
	v_and_b32_e32 v20, 1, v18
	v_add_co_u32_e64 v21, s[24:25], -1, v20
	v_lshlrev_b32_e32 v10, 30, v18
	v_addc_co_u32_e64 v22, s[24:25], 0, -1, s[24:25]
	v_mad_u32_u24 v17, v2, s27, v1
	v_cmp_ne_u32_e64 s[24:25], 0, v20
	v_cmp_gt_i64_e64 s[26:27], 0, v[9:10]
	v_not_b32_e32 v20, v10
	v_lshlrev_b32_e32 v10, 29, v18
	v_xor_b32_e32 v22, s25, v22
	v_xor_b32_e32 v21, s24, v21
	v_ashrrev_i32_e32 v20, 31, v20
	v_cmp_gt_i64_e64 s[24:25], 0, v[9:10]
	v_not_b32_e32 v23, v10
	v_lshlrev_b32_e32 v10, 28, v18
	v_and_b32_e32 v22, exec_hi, v22
	v_and_b32_e32 v21, exec_lo, v21
	v_xor_b32_e32 v24, s27, v20
	v_xor_b32_e32 v20, s26, v20
	v_ashrrev_i32_e32 v23, 31, v23
	v_cmp_gt_i64_e64 s[26:27], 0, v[9:10]
	v_not_b32_e32 v25, v10
	v_lshlrev_b32_e32 v10, 27, v18
	v_and_b32_e32 v22, v22, v24
	v_and_b32_e32 v20, v21, v20
	v_xor_b32_e32 v21, s25, v23
	v_xor_b32_e32 v23, s24, v23
	v_ashrrev_i32_e32 v24, 31, v25
	v_cmp_gt_i64_e64 s[24:25], 0, v[9:10]
	v_not_b32_e32 v25, v10
	v_lshlrev_b32_e32 v10, 26, v18
	v_and_b32_e32 v21, v22, v21
	v_and_b32_e32 v20, v20, v23
	;; [unrolled: 8-line block ×3, first 2 shown]
	v_xor_b32_e32 v22, s25, v24
	v_xor_b32_e32 v23, s24, v24
	v_ashrrev_i32_e32 v24, 31, v25
	v_cmp_gt_i64_e64 s[24:25], 0, v[9:10]
	v_not_b32_e32 v25, v10
	v_mul_u32_u24_e32 v19, 20, v18
	v_lshlrev_b32_e32 v10, 24, v18
	v_and_b32_e32 v18, v21, v22
	v_and_b32_e32 v20, v20, v23
	v_xor_b32_e32 v21, s27, v24
	v_ashrrev_i32_e32 v23, 31, v25
	v_xor_b32_e32 v22, s26, v24
	v_and_b32_e32 v18, v18, v21
	v_xor_b32_e32 v21, s25, v23
	v_and_b32_e32 v20, v20, v22
	;; [unrolled: 2-line block ×3, first 2 shown]
	v_cmp_gt_i64_e64 s[26:27], 0, v[9:10]
	v_not_b32_e32 v10, v10
	v_ashrrev_i32_e32 v10, 31, v10
	v_and_b32_e32 v20, v20, v22
	v_xor_b32_e32 v22, s27, v10
	v_xor_b32_e32 v10, s26, v10
	v_and_b32_e32 v10, v20, v10
	v_mul_u32_u24_e32 v16, 20, v0
	ds_write2_b32 v16, v9, v9 offset0:4 offset1:5
	ds_write2_b32 v16, v9, v9 offset0:6 offset1:7
	ds_write_b32 v16, v9 offset:32
	s_waitcnt vmcnt(0) lgkmcnt(0)
	s_barrier
	; wave barrier
	v_mad_u64_u32 v[17:18], s[24:25], v17, v11, v[0:1]
	v_and_b32_e32 v11, v21, v22
	v_cmp_ne_u64_e64 s[24:25], 0, v[10:11]
	v_lshrrev_b32_e32 v17, 4, v17
	v_and_b32_e32 v25, 0xffffffc, v17
	v_mbcnt_lo_u32_b32 v17, v10, 0
	v_mbcnt_hi_u32_b32 v17, v11, v17
	v_cmp_eq_u32_e64 s[26:27], 0, v17
	s_and_b64 s[26:27], s[24:25], s[26:27]
	v_add_u32_e32 v20, v25, v19
	s_and_saveexec_b64 s[24:25], s[26:27]
; %bb.26:
	v_bcnt_u32_b32 v10, v10, 0
	v_bcnt_u32_b32 v10, v11, v10
	ds_write_b32 v20, v10 offset:16
; %bb.27:
	s_or_b64 exec, exec, s[24:25]
	v_mov_b32_e32 v10, -1
	v_xor_b32_sdwa v18, v3, v10 dst_sel:DWORD dst_unused:UNUSED_PAD src0_sel:WORD_1 src1_sel:DWORD
	v_lshrrev_b32_sdwa v3, s68, v18 dst_sel:DWORD dst_unused:UNUSED_PAD src0_sel:DWORD src1_sel:WORD_0
	v_and_b32_e32 v3, s74, v3
	v_mad_u32_u24 v10, v3, 20, v25
	; wave barrier
	ds_read_b32 v19, v10 offset:16
	v_and_b32_e32 v10, 1, v3
	v_add_co_u32_e64 v21, s[24:25], -1, v10
	v_addc_co_u32_e64 v22, s[24:25], 0, -1, s[24:25]
	v_cmp_ne_u32_e64 s[24:25], 0, v10
	v_xor_b32_e32 v10, s25, v22
	v_and_b32_e32 v22, exec_hi, v10
	v_lshlrev_b32_e32 v10, 30, v3
	v_xor_b32_e32 v21, s24, v21
	v_cmp_gt_i64_e64 s[24:25], 0, v[9:10]
	v_not_b32_e32 v10, v10
	v_ashrrev_i32_e32 v10, 31, v10
	v_and_b32_e32 v21, exec_lo, v21
	v_xor_b32_e32 v23, s25, v10
	v_xor_b32_e32 v10, s24, v10
	v_and_b32_e32 v21, v21, v10
	v_lshlrev_b32_e32 v10, 29, v3
	v_cmp_gt_i64_e64 s[24:25], 0, v[9:10]
	v_not_b32_e32 v10, v10
	v_ashrrev_i32_e32 v10, 31, v10
	v_and_b32_e32 v22, v22, v23
	v_xor_b32_e32 v23, s25, v10
	v_xor_b32_e32 v10, s24, v10
	v_and_b32_e32 v21, v21, v10
	v_lshlrev_b32_e32 v10, 28, v3
	v_cmp_gt_i64_e64 s[24:25], 0, v[9:10]
	v_not_b32_e32 v10, v10
	v_ashrrev_i32_e32 v10, 31, v10
	v_and_b32_e32 v22, v22, v23
	v_xor_b32_e32 v23, s25, v10
	v_xor_b32_e32 v10, s24, v10
	v_and_b32_e32 v21, v21, v10
	v_lshlrev_b32_e32 v10, 27, v3
	v_cmp_gt_i64_e64 s[24:25], 0, v[9:10]
	v_not_b32_e32 v10, v10
	v_ashrrev_i32_e32 v10, 31, v10
	v_and_b32_e32 v22, v22, v23
	v_xor_b32_e32 v23, s25, v10
	v_xor_b32_e32 v10, s24, v10
	v_and_b32_e32 v21, v21, v10
	v_lshlrev_b32_e32 v10, 26, v3
	v_cmp_gt_i64_e64 s[24:25], 0, v[9:10]
	v_not_b32_e32 v10, v10
	v_ashrrev_i32_e32 v10, 31, v10
	v_and_b32_e32 v22, v22, v23
	v_xor_b32_e32 v23, s25, v10
	v_xor_b32_e32 v10, s24, v10
	v_and_b32_e32 v21, v21, v10
	v_lshlrev_b32_e32 v10, 25, v3
	v_cmp_gt_i64_e64 s[24:25], 0, v[9:10]
	v_not_b32_e32 v10, v10
	v_ashrrev_i32_e32 v10, 31, v10
	v_and_b32_e32 v22, v22, v23
	v_xor_b32_e32 v23, s25, v10
	v_xor_b32_e32 v10, s24, v10
	v_and_b32_e32 v21, v21, v10
	v_lshlrev_b32_e32 v10, 24, v3
	v_mul_u32_u24_e32 v11, 20, v3
	v_cmp_gt_i64_e64 s[24:25], 0, v[9:10]
	v_not_b32_e32 v3, v10
	v_ashrrev_i32_e32 v3, 31, v3
	v_and_b32_e32 v22, v22, v23
	v_xor_b32_e32 v9, s25, v3
	v_xor_b32_e32 v3, s24, v3
	v_and_b32_e32 v10, v22, v9
	v_and_b32_e32 v9, v21, v3
	v_mbcnt_lo_u32_b32 v3, v9, 0
	v_mbcnt_hi_u32_b32 v22, v10, v3
	v_cmp_ne_u64_e64 s[24:25], 0, v[9:10]
	v_cmp_eq_u32_e64 s[26:27], 0, v22
	s_and_b64 s[26:27], s[24:25], s[26:27]
	v_add_u32_e32 v24, v25, v11
	; wave barrier
	s_and_saveexec_b64 s[24:25], s[26:27]
	s_cbranch_execz .LBB14_29
; %bb.28:
	v_bcnt_u32_b32 v3, v9, 0
	v_bcnt_u32_b32 v3, v10, v3
	s_waitcnt lgkmcnt(0)
	v_add_u32_e32 v3, v19, v3
	ds_write_b32 v24, v3 offset:16
.LBB14_29:
	s_or_b64 exec, exec, s[24:25]
	v_xor_b32_e32 v21, -1, v4
	v_lshrrev_b32_sdwa v3, s68, v21 dst_sel:DWORD dst_unused:UNUSED_PAD src0_sel:DWORD src1_sel:WORD_0
	v_and_b32_e32 v3, s74, v3
	v_and_b32_e32 v10, 1, v3
	v_add_co_u32_e64 v11, s[24:25], -1, v10
	v_addc_co_u32_e64 v26, s[24:25], 0, -1, s[24:25]
	v_cmp_ne_u32_e64 s[24:25], 0, v10
	v_mad_u32_u24 v9, v3, 20, v25
	v_xor_b32_e32 v10, s25, v26
	; wave barrier
	ds_read_b32 v23, v9 offset:16
	v_mov_b32_e32 v9, 0
	v_and_b32_e32 v26, exec_hi, v10
	v_lshlrev_b32_e32 v10, 30, v3
	v_xor_b32_e32 v11, s24, v11
	v_cmp_gt_i64_e64 s[24:25], 0, v[9:10]
	v_not_b32_e32 v10, v10
	v_ashrrev_i32_e32 v10, 31, v10
	v_and_b32_e32 v11, exec_lo, v11
	v_xor_b32_e32 v28, s25, v10
	v_xor_b32_e32 v10, s24, v10
	v_and_b32_e32 v11, v11, v10
	v_lshlrev_b32_e32 v10, 29, v3
	v_cmp_gt_i64_e64 s[24:25], 0, v[9:10]
	v_not_b32_e32 v10, v10
	v_ashrrev_i32_e32 v10, 31, v10
	v_and_b32_e32 v26, v26, v28
	v_xor_b32_e32 v28, s25, v10
	v_xor_b32_e32 v10, s24, v10
	v_and_b32_e32 v11, v11, v10
	v_lshlrev_b32_e32 v10, 28, v3
	v_cmp_gt_i64_e64 s[24:25], 0, v[9:10]
	v_not_b32_e32 v10, v10
	v_ashrrev_i32_e32 v10, 31, v10
	v_and_b32_e32 v26, v26, v28
	;; [unrolled: 8-line block ×5, first 2 shown]
	v_xor_b32_e32 v28, s25, v10
	v_xor_b32_e32 v10, s24, v10
	v_and_b32_e32 v26, v26, v28
	v_and_b32_e32 v28, v11, v10
	v_lshlrev_b32_e32 v10, 24, v3
	v_mul_u32_u24_e32 v27, 20, v3
	v_cmp_gt_i64_e64 s[24:25], 0, v[9:10]
	v_not_b32_e32 v3, v10
	v_ashrrev_i32_e32 v3, 31, v3
	v_xor_b32_e32 v10, s25, v3
	v_xor_b32_e32 v3, s24, v3
	v_and_b32_e32 v11, v26, v10
	v_and_b32_e32 v10, v28, v3
	v_mbcnt_lo_u32_b32 v3, v10, 0
	v_mbcnt_hi_u32_b32 v26, v11, v3
	v_cmp_ne_u64_e64 s[24:25], 0, v[10:11]
	v_cmp_eq_u32_e64 s[26:27], 0, v26
	s_and_b64 s[26:27], s[24:25], s[26:27]
	v_add_u32_e32 v28, v25, v27
	; wave barrier
	s_and_saveexec_b64 s[24:25], s[26:27]
	s_cbranch_execz .LBB14_31
; %bb.30:
	v_bcnt_u32_b32 v3, v10, 0
	v_bcnt_u32_b32 v3, v11, v3
	s_waitcnt lgkmcnt(0)
	v_add_u32_e32 v3, v23, v3
	ds_write_b32 v28, v3 offset:16
.LBB14_31:
	s_or_b64 exec, exec, s[24:25]
	v_mov_b32_e32 v3, -1
	v_xor_b32_sdwa v11, v4, v3 dst_sel:DWORD dst_unused:UNUSED_PAD src0_sel:WORD_1 src1_sel:DWORD
	v_lshrrev_b32_sdwa v3, s68, v11 dst_sel:DWORD dst_unused:UNUSED_PAD src0_sel:DWORD src1_sel:WORD_0
	v_and_b32_e32 v3, s74, v3
	v_mad_u32_u24 v4, v3, 20, v25
	; wave barrier
	ds_read_b32 v27, v4 offset:16
	v_and_b32_e32 v4, 1, v3
	v_add_co_u32_e64 v10, s[24:25], -1, v4
	v_addc_co_u32_e64 v31, s[24:25], 0, -1, s[24:25]
	v_cmp_ne_u32_e64 s[24:25], 0, v4
	v_xor_b32_e32 v10, s24, v10
	v_xor_b32_e32 v4, s25, v31
	v_and_b32_e32 v31, exec_lo, v10
	v_lshlrev_b32_e32 v10, 30, v3
	v_cmp_gt_i64_e64 s[24:25], 0, v[9:10]
	v_not_b32_e32 v10, v10
	v_ashrrev_i32_e32 v10, 31, v10
	v_xor_b32_e32 v32, s25, v10
	v_xor_b32_e32 v10, s24, v10
	v_and_b32_e32 v31, v31, v10
	v_lshlrev_b32_e32 v10, 29, v3
	v_cmp_gt_i64_e64 s[24:25], 0, v[9:10]
	v_not_b32_e32 v10, v10
	v_and_b32_e32 v4, exec_hi, v4
	v_ashrrev_i32_e32 v10, 31, v10
	v_and_b32_e32 v4, v4, v32
	v_xor_b32_e32 v32, s25, v10
	v_xor_b32_e32 v10, s24, v10
	v_and_b32_e32 v31, v31, v10
	v_lshlrev_b32_e32 v10, 28, v3
	v_cmp_gt_i64_e64 s[24:25], 0, v[9:10]
	v_not_b32_e32 v10, v10
	v_ashrrev_i32_e32 v10, 31, v10
	v_and_b32_e32 v4, v4, v32
	v_xor_b32_e32 v32, s25, v10
	v_xor_b32_e32 v10, s24, v10
	v_and_b32_e32 v31, v31, v10
	v_lshlrev_b32_e32 v10, 27, v3
	v_cmp_gt_i64_e64 s[24:25], 0, v[9:10]
	v_not_b32_e32 v10, v10
	;; [unrolled: 8-line block ×4, first 2 shown]
	v_ashrrev_i32_e32 v10, 31, v10
	v_and_b32_e32 v4, v4, v32
	v_xor_b32_e32 v32, s25, v10
	v_xor_b32_e32 v10, s24, v10
	v_and_b32_e32 v31, v31, v10
	v_lshlrev_b32_e32 v10, 24, v3
	v_mul_u32_u24_e32 v30, 20, v3
	v_cmp_gt_i64_e64 s[24:25], 0, v[9:10]
	v_not_b32_e32 v3, v10
	v_ashrrev_i32_e32 v3, 31, v3
	v_xor_b32_e32 v9, s25, v3
	v_xor_b32_e32 v3, s24, v3
	v_and_b32_e32 v4, v4, v32
	v_and_b32_e32 v3, v31, v3
	;; [unrolled: 1-line block ×3, first 2 shown]
	v_mbcnt_lo_u32_b32 v9, v3, 0
	v_mbcnt_hi_u32_b32 v32, v4, v9
	v_cmp_ne_u64_e64 s[24:25], 0, v[3:4]
	v_cmp_eq_u32_e64 s[26:27], 0, v32
	s_and_b64 s[26:27], s[24:25], s[26:27]
	v_add_u32_e32 v30, v25, v30
	; wave barrier
	s_and_saveexec_b64 s[24:25], s[26:27]
	s_cbranch_execz .LBB14_33
; %bb.32:
	v_bcnt_u32_b32 v3, v3, 0
	v_bcnt_u32_b32 v3, v4, v3
	s_waitcnt lgkmcnt(0)
	v_add_u32_e32 v3, v27, v3
	ds_write_b32 v30, v3 offset:16
.LBB14_33:
	s_or_b64 exec, exec, s[24:25]
	v_xor_b32_e32 v31, -1, v5
	v_lshrrev_b32_sdwa v3, s68, v31 dst_sel:DWORD dst_unused:UNUSED_PAD src0_sel:DWORD src1_sel:WORD_0
	v_and_b32_e32 v9, s74, v3
	v_and_b32_e32 v4, 1, v9
	v_add_co_u32_e64 v10, s[24:25], -1, v4
	v_addc_co_u32_e64 v34, s[24:25], 0, -1, s[24:25]
	v_cmp_ne_u32_e64 s[24:25], 0, v4
	v_mad_u32_u24 v3, v9, 20, v25
	v_xor_b32_e32 v4, s25, v34
	; wave barrier
	ds_read_b32 v33, v3 offset:16
	v_mov_b32_e32 v3, 0
	v_and_b32_e32 v34, exec_hi, v4
	v_lshlrev_b32_e32 v4, 30, v9
	v_xor_b32_e32 v10, s24, v10
	v_cmp_gt_i64_e64 s[24:25], 0, v[3:4]
	v_not_b32_e32 v4, v4
	v_ashrrev_i32_e32 v4, 31, v4
	v_and_b32_e32 v10, exec_lo, v10
	v_xor_b32_e32 v36, s25, v4
	v_xor_b32_e32 v4, s24, v4
	v_and_b32_e32 v10, v10, v4
	v_lshlrev_b32_e32 v4, 29, v9
	v_cmp_gt_i64_e64 s[24:25], 0, v[3:4]
	v_not_b32_e32 v4, v4
	v_ashrrev_i32_e32 v4, 31, v4
	v_and_b32_e32 v34, v34, v36
	v_xor_b32_e32 v36, s25, v4
	v_xor_b32_e32 v4, s24, v4
	v_and_b32_e32 v10, v10, v4
	v_lshlrev_b32_e32 v4, 28, v9
	v_cmp_gt_i64_e64 s[24:25], 0, v[3:4]
	v_not_b32_e32 v4, v4
	v_ashrrev_i32_e32 v4, 31, v4
	v_and_b32_e32 v34, v34, v36
	;; [unrolled: 8-line block ×5, first 2 shown]
	v_xor_b32_e32 v36, s25, v4
	v_xor_b32_e32 v4, s24, v4
	v_and_b32_e32 v34, v34, v36
	v_and_b32_e32 v36, v10, v4
	v_lshlrev_b32_e32 v4, 24, v9
	v_cmp_gt_i64_e64 s[24:25], 0, v[3:4]
	v_not_b32_e32 v4, v4
	v_ashrrev_i32_e32 v4, 31, v4
	v_mul_u32_u24_e32 v35, 20, v9
	v_xor_b32_e32 v9, s25, v4
	v_xor_b32_e32 v4, s24, v4
	v_and_b32_e32 v10, v34, v9
	v_and_b32_e32 v9, v36, v4
	v_mbcnt_lo_u32_b32 v4, v9, 0
	v_mbcnt_hi_u32_b32 v34, v10, v4
	v_cmp_ne_u64_e64 s[24:25], 0, v[9:10]
	v_cmp_eq_u32_e64 s[26:27], 0, v34
	s_and_b64 s[26:27], s[24:25], s[26:27]
	v_add_u32_e32 v35, v25, v35
	; wave barrier
	s_and_saveexec_b64 s[24:25], s[26:27]
	s_cbranch_execz .LBB14_35
; %bb.34:
	v_bcnt_u32_b32 v4, v9, 0
	v_bcnt_u32_b32 v4, v10, v4
	s_waitcnt lgkmcnt(0)
	v_add_u32_e32 v4, v33, v4
	ds_write_b32 v35, v4 offset:16
.LBB14_35:
	s_or_b64 exec, exec, s[24:25]
	v_mov_b32_e32 v4, -1
	v_xor_b32_sdwa v9, v5, v4 dst_sel:DWORD dst_unused:UNUSED_PAD src0_sel:WORD_1 src1_sel:DWORD
	v_lshrrev_b32_sdwa v4, s68, v9 dst_sel:DWORD dst_unused:UNUSED_PAD src0_sel:DWORD src1_sel:WORD_0
	v_and_b32_e32 v5, s74, v4
	v_mad_u32_u24 v4, v5, 20, v25
	; wave barrier
	ds_read_b32 v10, v4 offset:16
	v_and_b32_e32 v4, 1, v5
	v_add_co_u32_e64 v36, s[24:25], -1, v4
	v_addc_co_u32_e64 v38, s[24:25], 0, -1, s[24:25]
	v_cmp_ne_u32_e64 s[24:25], 0, v4
	v_xor_b32_e32 v4, s25, v38
	v_and_b32_e32 v38, exec_hi, v4
	v_lshlrev_b32_e32 v4, 30, v5
	v_xor_b32_e32 v36, s24, v36
	v_cmp_gt_i64_e64 s[24:25], 0, v[3:4]
	v_not_b32_e32 v4, v4
	v_ashrrev_i32_e32 v4, 31, v4
	v_and_b32_e32 v36, exec_lo, v36
	v_xor_b32_e32 v39, s25, v4
	v_xor_b32_e32 v4, s24, v4
	v_and_b32_e32 v36, v36, v4
	v_lshlrev_b32_e32 v4, 29, v5
	v_cmp_gt_i64_e64 s[24:25], 0, v[3:4]
	v_not_b32_e32 v4, v4
	v_ashrrev_i32_e32 v4, 31, v4
	v_and_b32_e32 v38, v38, v39
	v_xor_b32_e32 v39, s25, v4
	v_xor_b32_e32 v4, s24, v4
	v_and_b32_e32 v36, v36, v4
	v_lshlrev_b32_e32 v4, 28, v5
	v_cmp_gt_i64_e64 s[24:25], 0, v[3:4]
	v_not_b32_e32 v4, v4
	v_ashrrev_i32_e32 v4, 31, v4
	v_and_b32_e32 v38, v38, v39
	;; [unrolled: 8-line block ×5, first 2 shown]
	v_xor_b32_e32 v39, s25, v4
	v_xor_b32_e32 v4, s24, v4
	v_and_b32_e32 v36, v36, v4
	v_lshlrev_b32_e32 v4, 24, v5
	v_cmp_gt_i64_e64 s[24:25], 0, v[3:4]
	v_not_b32_e32 v3, v4
	v_ashrrev_i32_e32 v3, 31, v3
	v_xor_b32_e32 v4, s25, v3
	v_xor_b32_e32 v3, s24, v3
	v_and_b32_e32 v38, v38, v39
	v_and_b32_e32 v3, v36, v3
	v_mul_u32_u24_e32 v37, 20, v5
	v_and_b32_e32 v4, v38, v4
	v_mbcnt_lo_u32_b32 v5, v3, 0
	v_mbcnt_hi_u32_b32 v36, v4, v5
	v_cmp_ne_u64_e64 s[24:25], 0, v[3:4]
	v_cmp_eq_u32_e64 s[26:27], 0, v36
	s_and_b64 s[26:27], s[24:25], s[26:27]
	v_add_u32_e32 v38, v25, v37
	; wave barrier
	s_and_saveexec_b64 s[24:25], s[26:27]
	s_cbranch_execz .LBB14_37
; %bb.36:
	v_bcnt_u32_b32 v3, v3, 0
	v_bcnt_u32_b32 v3, v4, v3
	s_waitcnt lgkmcnt(0)
	v_add_u32_e32 v3, v10, v3
	ds_write_b32 v38, v3 offset:16
.LBB14_37:
	s_or_b64 exec, exec, s[24:25]
	v_xor_b32_e32 v45, -1, v6
	v_lshrrev_b32_sdwa v3, s68, v45 dst_sel:DWORD dst_unused:UNUSED_PAD src0_sel:DWORD src1_sel:WORD_0
	v_and_b32_e32 v5, s74, v3
	v_and_b32_e32 v4, 1, v5
	v_add_co_u32_e64 v40, s[24:25], -1, v4
	v_addc_co_u32_e64 v41, s[24:25], 0, -1, s[24:25]
	v_cmp_ne_u32_e64 s[24:25], 0, v4
	v_mad_u32_u24 v3, v5, 20, v25
	v_xor_b32_e32 v4, s25, v41
	; wave barrier
	ds_read_b32 v37, v3 offset:16
	v_mov_b32_e32 v3, 0
	v_and_b32_e32 v41, exec_hi, v4
	v_lshlrev_b32_e32 v4, 30, v5
	v_xor_b32_e32 v40, s24, v40
	v_cmp_gt_i64_e64 s[24:25], 0, v[3:4]
	v_not_b32_e32 v4, v4
	v_ashrrev_i32_e32 v4, 31, v4
	v_and_b32_e32 v40, exec_lo, v40
	v_xor_b32_e32 v42, s25, v4
	v_xor_b32_e32 v4, s24, v4
	v_and_b32_e32 v40, v40, v4
	v_lshlrev_b32_e32 v4, 29, v5
	v_cmp_gt_i64_e64 s[24:25], 0, v[3:4]
	v_not_b32_e32 v4, v4
	v_ashrrev_i32_e32 v4, 31, v4
	v_and_b32_e32 v41, v41, v42
	v_xor_b32_e32 v42, s25, v4
	v_xor_b32_e32 v4, s24, v4
	v_and_b32_e32 v40, v40, v4
	v_lshlrev_b32_e32 v4, 28, v5
	v_cmp_gt_i64_e64 s[24:25], 0, v[3:4]
	v_not_b32_e32 v4, v4
	v_ashrrev_i32_e32 v4, 31, v4
	v_and_b32_e32 v41, v41, v42
	;; [unrolled: 8-line block ×5, first 2 shown]
	v_xor_b32_e32 v42, s25, v4
	v_xor_b32_e32 v4, s24, v4
	v_and_b32_e32 v40, v40, v4
	v_lshlrev_b32_e32 v4, 24, v5
	v_cmp_gt_i64_e64 s[24:25], 0, v[3:4]
	v_not_b32_e32 v4, v4
	v_ashrrev_i32_e32 v4, 31, v4
	v_mul_u32_u24_e32 v39, 20, v5
	v_xor_b32_e32 v5, s25, v4
	v_xor_b32_e32 v4, s24, v4
	v_and_b32_e32 v41, v41, v42
	v_and_b32_e32 v4, v40, v4
	;; [unrolled: 1-line block ×3, first 2 shown]
	v_mbcnt_lo_u32_b32 v40, v4, 0
	v_mbcnt_hi_u32_b32 v47, v5, v40
	v_cmp_ne_u64_e64 s[24:25], 0, v[4:5]
	v_cmp_eq_u32_e64 s[26:27], 0, v47
	s_and_b64 s[26:27], s[24:25], s[26:27]
	v_add_u32_e32 v39, v25, v39
	; wave barrier
	s_and_saveexec_b64 s[24:25], s[26:27]
	s_cbranch_execz .LBB14_39
; %bb.38:
	v_bcnt_u32_b32 v4, v4, 0
	v_bcnt_u32_b32 v4, v5, v4
	s_waitcnt lgkmcnt(0)
	v_add_u32_e32 v4, v37, v4
	ds_write_b32 v39, v4 offset:16
.LBB14_39:
	s_or_b64 exec, exec, s[24:25]
	v_mov_b32_e32 v4, -1
	v_xor_b32_sdwa v46, v6, v4 dst_sel:DWORD dst_unused:UNUSED_PAD src0_sel:WORD_1 src1_sel:DWORD
	v_lshrrev_b32_sdwa v4, s68, v46 dst_sel:DWORD dst_unused:UNUSED_PAD src0_sel:DWORD src1_sel:WORD_0
	v_and_b32_e32 v5, s74, v4
	v_mad_u32_u24 v4, v5, 20, v25
	; wave barrier
	ds_read_b32 v48, v4 offset:16
	v_and_b32_e32 v4, 1, v5
	v_add_co_u32_e64 v40, s[24:25], -1, v4
	v_addc_co_u32_e64 v41, s[24:25], 0, -1, s[24:25]
	v_cmp_ne_u32_e64 s[24:25], 0, v4
	v_xor_b32_e32 v4, s25, v41
	v_and_b32_e32 v41, exec_hi, v4
	v_lshlrev_b32_e32 v4, 30, v5
	v_xor_b32_e32 v40, s24, v40
	v_cmp_gt_i64_e64 s[24:25], 0, v[3:4]
	v_not_b32_e32 v4, v4
	v_ashrrev_i32_e32 v4, 31, v4
	v_and_b32_e32 v40, exec_lo, v40
	v_xor_b32_e32 v42, s25, v4
	v_xor_b32_e32 v4, s24, v4
	v_and_b32_e32 v40, v40, v4
	v_lshlrev_b32_e32 v4, 29, v5
	v_cmp_gt_i64_e64 s[24:25], 0, v[3:4]
	v_not_b32_e32 v4, v4
	v_ashrrev_i32_e32 v4, 31, v4
	v_and_b32_e32 v41, v41, v42
	v_xor_b32_e32 v42, s25, v4
	v_xor_b32_e32 v4, s24, v4
	v_and_b32_e32 v40, v40, v4
	v_lshlrev_b32_e32 v4, 28, v5
	v_cmp_gt_i64_e64 s[24:25], 0, v[3:4]
	v_not_b32_e32 v4, v4
	v_ashrrev_i32_e32 v4, 31, v4
	v_and_b32_e32 v41, v41, v42
	;; [unrolled: 8-line block ×5, first 2 shown]
	v_xor_b32_e32 v42, s25, v4
	v_xor_b32_e32 v4, s24, v4
	v_and_b32_e32 v40, v40, v4
	v_lshlrev_b32_e32 v4, 24, v5
	v_cmp_gt_i64_e64 s[24:25], 0, v[3:4]
	v_not_b32_e32 v3, v4
	v_ashrrev_i32_e32 v3, 31, v3
	v_xor_b32_e32 v4, s25, v3
	v_xor_b32_e32 v3, s24, v3
	v_and_b32_e32 v41, v41, v42
	v_and_b32_e32 v3, v40, v3
	v_mul_u32_u24_e32 v6, 20, v5
	v_and_b32_e32 v4, v41, v4
	v_mbcnt_lo_u32_b32 v5, v3, 0
	v_mbcnt_hi_u32_b32 v50, v4, v5
	v_cmp_ne_u64_e64 s[24:25], 0, v[3:4]
	v_cmp_eq_u32_e64 s[26:27], 0, v50
	s_and_b64 s[26:27], s[24:25], s[26:27]
	v_add_u32_e32 v40, v25, v6
	; wave barrier
	s_and_saveexec_b64 s[24:25], s[26:27]
	s_cbranch_execz .LBB14_41
; %bb.40:
	v_bcnt_u32_b32 v3, v3, 0
	v_bcnt_u32_b32 v3, v4, v3
	s_waitcnt lgkmcnt(0)
	v_add_u32_e32 v3, v48, v3
	ds_write_b32 v40, v3 offset:16
.LBB14_41:
	s_or_b64 exec, exec, s[24:25]
	v_xor_b32_e32 v49, -1, v7
	v_lshrrev_b32_sdwa v3, s68, v49 dst_sel:DWORD dst_unused:UNUSED_PAD src0_sel:DWORD src1_sel:WORD_0
	v_and_b32_e32 v5, s74, v3
	v_and_b32_e32 v4, 1, v5
	v_add_co_u32_e64 v41, s[24:25], -1, v4
	v_addc_co_u32_e64 v42, s[24:25], 0, -1, s[24:25]
	v_cmp_ne_u32_e64 s[24:25], 0, v4
	v_mad_u32_u24 v3, v5, 20, v25
	v_xor_b32_e32 v4, s25, v42
	; wave barrier
	ds_read_b32 v51, v3 offset:16
	v_mov_b32_e32 v3, 0
	v_and_b32_e32 v42, exec_hi, v4
	v_lshlrev_b32_e32 v4, 30, v5
	v_xor_b32_e32 v41, s24, v41
	v_cmp_gt_i64_e64 s[24:25], 0, v[3:4]
	v_not_b32_e32 v4, v4
	v_ashrrev_i32_e32 v4, 31, v4
	v_and_b32_e32 v41, exec_lo, v41
	v_xor_b32_e32 v43, s25, v4
	v_xor_b32_e32 v4, s24, v4
	v_and_b32_e32 v41, v41, v4
	v_lshlrev_b32_e32 v4, 29, v5
	v_cmp_gt_i64_e64 s[24:25], 0, v[3:4]
	v_not_b32_e32 v4, v4
	v_ashrrev_i32_e32 v4, 31, v4
	v_and_b32_e32 v42, v42, v43
	v_xor_b32_e32 v43, s25, v4
	v_xor_b32_e32 v4, s24, v4
	v_and_b32_e32 v41, v41, v4
	v_lshlrev_b32_e32 v4, 28, v5
	v_cmp_gt_i64_e64 s[24:25], 0, v[3:4]
	v_not_b32_e32 v4, v4
	v_ashrrev_i32_e32 v4, 31, v4
	v_and_b32_e32 v42, v42, v43
	;; [unrolled: 8-line block ×5, first 2 shown]
	v_xor_b32_e32 v43, s25, v4
	v_xor_b32_e32 v4, s24, v4
	v_and_b32_e32 v41, v41, v4
	v_lshlrev_b32_e32 v4, 24, v5
	v_cmp_gt_i64_e64 s[24:25], 0, v[3:4]
	v_not_b32_e32 v4, v4
	v_ashrrev_i32_e32 v4, 31, v4
	v_mul_u32_u24_e32 v6, 20, v5
	v_xor_b32_e32 v5, s25, v4
	v_xor_b32_e32 v4, s24, v4
	v_and_b32_e32 v42, v42, v43
	v_and_b32_e32 v4, v41, v4
	;; [unrolled: 1-line block ×3, first 2 shown]
	v_mbcnt_lo_u32_b32 v41, v4, 0
	v_mbcnt_hi_u32_b32 v52, v5, v41
	v_cmp_ne_u64_e64 s[24:25], 0, v[4:5]
	v_cmp_eq_u32_e64 s[26:27], 0, v52
	s_and_b64 s[26:27], s[24:25], s[26:27]
	v_add_u32_e32 v41, v25, v6
	; wave barrier
	s_and_saveexec_b64 s[24:25], s[26:27]
	s_cbranch_execz .LBB14_43
; %bb.42:
	v_bcnt_u32_b32 v4, v4, 0
	v_bcnt_u32_b32 v4, v5, v4
	s_waitcnt lgkmcnt(0)
	v_add_u32_e32 v4, v51, v4
	ds_write_b32 v41, v4 offset:16
.LBB14_43:
	s_or_b64 exec, exec, s[24:25]
	v_mov_b32_e32 v4, -1
	v_xor_b32_sdwa v7, v7, v4 dst_sel:DWORD dst_unused:UNUSED_PAD src0_sel:WORD_1 src1_sel:DWORD
	v_lshrrev_b32_sdwa v4, s68, v7 dst_sel:DWORD dst_unused:UNUSED_PAD src0_sel:DWORD src1_sel:WORD_0
	v_and_b32_e32 v5, s74, v4
	v_mad_u32_u24 v4, v5, 20, v25
	; wave barrier
	ds_read_b32 v53, v4 offset:16
	v_and_b32_e32 v4, 1, v5
	v_add_co_u32_e64 v42, s[24:25], -1, v4
	v_addc_co_u32_e64 v43, s[24:25], 0, -1, s[24:25]
	v_cmp_ne_u32_e64 s[24:25], 0, v4
	v_xor_b32_e32 v4, s25, v43
	v_and_b32_e32 v43, exec_hi, v4
	v_lshlrev_b32_e32 v4, 30, v5
	v_xor_b32_e32 v42, s24, v42
	v_cmp_gt_i64_e64 s[24:25], 0, v[3:4]
	v_not_b32_e32 v4, v4
	v_ashrrev_i32_e32 v4, 31, v4
	v_and_b32_e32 v42, exec_lo, v42
	v_xor_b32_e32 v44, s25, v4
	v_xor_b32_e32 v4, s24, v4
	v_and_b32_e32 v42, v42, v4
	v_lshlrev_b32_e32 v4, 29, v5
	v_cmp_gt_i64_e64 s[24:25], 0, v[3:4]
	v_not_b32_e32 v4, v4
	v_ashrrev_i32_e32 v4, 31, v4
	v_and_b32_e32 v43, v43, v44
	v_xor_b32_e32 v44, s25, v4
	v_xor_b32_e32 v4, s24, v4
	v_and_b32_e32 v42, v42, v4
	v_lshlrev_b32_e32 v4, 28, v5
	v_cmp_gt_i64_e64 s[24:25], 0, v[3:4]
	v_not_b32_e32 v4, v4
	v_ashrrev_i32_e32 v4, 31, v4
	v_and_b32_e32 v43, v43, v44
	;; [unrolled: 8-line block ×5, first 2 shown]
	v_xor_b32_e32 v44, s25, v4
	v_xor_b32_e32 v4, s24, v4
	v_and_b32_e32 v42, v42, v4
	v_lshlrev_b32_e32 v4, 24, v5
	v_cmp_gt_i64_e64 s[24:25], 0, v[3:4]
	v_not_b32_e32 v3, v4
	v_ashrrev_i32_e32 v3, 31, v3
	v_xor_b32_e32 v4, s25, v3
	v_xor_b32_e32 v3, s24, v3
	v_and_b32_e32 v43, v43, v44
	v_and_b32_e32 v3, v42, v3
	v_mul_u32_u24_e32 v6, 20, v5
	v_and_b32_e32 v4, v43, v4
	v_mbcnt_lo_u32_b32 v5, v3, 0
	v_mbcnt_hi_u32_b32 v55, v4, v5
	v_cmp_ne_u64_e64 s[24:25], 0, v[3:4]
	v_cmp_eq_u32_e64 s[26:27], 0, v55
	s_and_b64 s[26:27], s[24:25], s[26:27]
	v_add_u32_e32 v42, v25, v6
	; wave barrier
	s_and_saveexec_b64 s[24:25], s[26:27]
	s_cbranch_execz .LBB14_45
; %bb.44:
	v_bcnt_u32_b32 v3, v3, 0
	v_bcnt_u32_b32 v3, v4, v3
	s_waitcnt lgkmcnt(0)
	v_add_u32_e32 v3, v53, v3
	ds_write_b32 v42, v3 offset:16
.LBB14_45:
	s_or_b64 exec, exec, s[24:25]
	v_xor_b32_e32 v54, -1, v8
	v_lshrrev_b32_sdwa v3, s68, v54 dst_sel:DWORD dst_unused:UNUSED_PAD src0_sel:DWORD src1_sel:WORD_0
	v_and_b32_e32 v5, s74, v3
	v_and_b32_e32 v4, 1, v5
	v_add_co_u32_e64 v43, s[24:25], -1, v4
	v_addc_co_u32_e64 v44, s[24:25], 0, -1, s[24:25]
	v_cmp_ne_u32_e64 s[24:25], 0, v4
	v_mad_u32_u24 v3, v5, 20, v25
	v_xor_b32_e32 v4, s25, v44
	; wave barrier
	ds_read_b32 v56, v3 offset:16
	v_mov_b32_e32 v3, 0
	v_and_b32_e32 v44, exec_hi, v4
	v_lshlrev_b32_e32 v4, 30, v5
	v_xor_b32_e32 v43, s24, v43
	v_cmp_gt_i64_e64 s[24:25], 0, v[3:4]
	v_not_b32_e32 v4, v4
	v_ashrrev_i32_e32 v4, 31, v4
	v_and_b32_e32 v43, exec_lo, v43
	v_xor_b32_e32 v57, s25, v4
	v_xor_b32_e32 v4, s24, v4
	v_and_b32_e32 v43, v43, v4
	v_lshlrev_b32_e32 v4, 29, v5
	v_cmp_gt_i64_e64 s[24:25], 0, v[3:4]
	v_not_b32_e32 v4, v4
	v_ashrrev_i32_e32 v4, 31, v4
	v_and_b32_e32 v44, v44, v57
	v_xor_b32_e32 v57, s25, v4
	v_xor_b32_e32 v4, s24, v4
	v_and_b32_e32 v43, v43, v4
	v_lshlrev_b32_e32 v4, 28, v5
	v_cmp_gt_i64_e64 s[24:25], 0, v[3:4]
	v_not_b32_e32 v4, v4
	v_ashrrev_i32_e32 v4, 31, v4
	v_and_b32_e32 v44, v44, v57
	v_xor_b32_e32 v57, s25, v4
	v_xor_b32_e32 v4, s24, v4
	v_and_b32_e32 v43, v43, v4
	v_lshlrev_b32_e32 v4, 27, v5
	v_cmp_gt_i64_e64 s[24:25], 0, v[3:4]
	v_not_b32_e32 v4, v4
	v_ashrrev_i32_e32 v4, 31, v4
	v_and_b32_e32 v44, v44, v57
	v_xor_b32_e32 v57, s25, v4
	v_xor_b32_e32 v4, s24, v4
	v_and_b32_e32 v43, v43, v4
	v_lshlrev_b32_e32 v4, 26, v5
	v_cmp_gt_i64_e64 s[24:25], 0, v[3:4]
	v_not_b32_e32 v4, v4
	v_ashrrev_i32_e32 v4, 31, v4
	v_and_b32_e32 v44, v44, v57
	v_xor_b32_e32 v57, s25, v4
	v_xor_b32_e32 v4, s24, v4
	v_and_b32_e32 v43, v43, v4
	v_lshlrev_b32_e32 v4, 25, v5
	v_cmp_gt_i64_e64 s[24:25], 0, v[3:4]
	v_not_b32_e32 v4, v4
	v_ashrrev_i32_e32 v4, 31, v4
	v_and_b32_e32 v44, v44, v57
	v_xor_b32_e32 v57, s25, v4
	v_xor_b32_e32 v4, s24, v4
	v_and_b32_e32 v43, v43, v4
	v_lshlrev_b32_e32 v4, 24, v5
	v_cmp_gt_i64_e64 s[24:25], 0, v[3:4]
	v_not_b32_e32 v4, v4
	v_ashrrev_i32_e32 v4, 31, v4
	v_mul_u32_u24_e32 v6, 20, v5
	v_xor_b32_e32 v5, s25, v4
	v_xor_b32_e32 v4, s24, v4
	v_and_b32_e32 v44, v44, v57
	v_and_b32_e32 v4, v43, v4
	;; [unrolled: 1-line block ×3, first 2 shown]
	v_mbcnt_lo_u32_b32 v43, v4, 0
	v_mbcnt_hi_u32_b32 v57, v5, v43
	v_cmp_ne_u64_e64 s[24:25], 0, v[4:5]
	v_cmp_eq_u32_e64 s[26:27], 0, v57
	s_and_b64 s[26:27], s[24:25], s[26:27]
	v_add_u32_e32 v43, v25, v6
	; wave barrier
	s_and_saveexec_b64 s[24:25], s[26:27]
	s_cbranch_execz .LBB14_47
; %bb.46:
	v_bcnt_u32_b32 v4, v4, 0
	v_bcnt_u32_b32 v4, v5, v4
	s_waitcnt lgkmcnt(0)
	v_add_u32_e32 v4, v56, v4
	ds_write_b32 v43, v4 offset:16
.LBB14_47:
	s_or_b64 exec, exec, s[24:25]
	v_mov_b32_e32 v4, -1
	v_xor_b32_sdwa v8, v8, v4 dst_sel:DWORD dst_unused:UNUSED_PAD src0_sel:WORD_1 src1_sel:DWORD
	v_lshrrev_b32_sdwa v4, s68, v8 dst_sel:DWORD dst_unused:UNUSED_PAD src0_sel:DWORD src1_sel:WORD_0
	v_and_b32_e32 v5, s74, v4
	v_mad_u32_u24 v4, v5, 20, v25
	; wave barrier
	ds_read_b32 v58, v4 offset:16
	v_and_b32_e32 v4, 1, v5
	v_add_co_u32_e64 v44, s[24:25], -1, v4
	v_addc_co_u32_e64 v59, s[24:25], 0, -1, s[24:25]
	v_cmp_ne_u32_e64 s[24:25], 0, v4
	v_xor_b32_e32 v4, s25, v59
	v_and_b32_e32 v59, exec_hi, v4
	v_lshlrev_b32_e32 v4, 30, v5
	v_xor_b32_e32 v44, s24, v44
	v_cmp_gt_i64_e64 s[24:25], 0, v[3:4]
	v_not_b32_e32 v4, v4
	v_ashrrev_i32_e32 v4, 31, v4
	v_and_b32_e32 v44, exec_lo, v44
	v_xor_b32_e32 v60, s25, v4
	v_xor_b32_e32 v4, s24, v4
	v_and_b32_e32 v44, v44, v4
	v_lshlrev_b32_e32 v4, 29, v5
	v_cmp_gt_i64_e64 s[24:25], 0, v[3:4]
	v_not_b32_e32 v4, v4
	v_ashrrev_i32_e32 v4, 31, v4
	v_and_b32_e32 v59, v59, v60
	v_xor_b32_e32 v60, s25, v4
	v_xor_b32_e32 v4, s24, v4
	v_and_b32_e32 v44, v44, v4
	v_lshlrev_b32_e32 v4, 28, v5
	v_cmp_gt_i64_e64 s[24:25], 0, v[3:4]
	v_not_b32_e32 v4, v4
	v_ashrrev_i32_e32 v4, 31, v4
	v_and_b32_e32 v59, v59, v60
	;; [unrolled: 8-line block ×5, first 2 shown]
	v_xor_b32_e32 v60, s25, v4
	v_xor_b32_e32 v4, s24, v4
	v_and_b32_e32 v44, v44, v4
	v_lshlrev_b32_e32 v4, 24, v5
	v_cmp_gt_i64_e64 s[24:25], 0, v[3:4]
	v_not_b32_e32 v3, v4
	v_ashrrev_i32_e32 v3, 31, v3
	v_xor_b32_e32 v4, s25, v3
	v_xor_b32_e32 v3, s24, v3
	v_and_b32_e32 v59, v59, v60
	v_and_b32_e32 v3, v44, v3
	v_mul_u32_u24_e32 v6, 20, v5
	v_and_b32_e32 v4, v59, v4
	v_mbcnt_lo_u32_b32 v5, v3, 0
	v_mbcnt_hi_u32_b32 v59, v4, v5
	v_cmp_ne_u64_e64 s[24:25], 0, v[3:4]
	v_cmp_eq_u32_e64 s[26:27], 0, v59
	s_and_b64 s[26:27], s[24:25], s[26:27]
	v_add_u32_e32 v25, v25, v6
	; wave barrier
	s_and_saveexec_b64 s[24:25], s[26:27]
	s_cbranch_execz .LBB14_49
; %bb.48:
	v_bcnt_u32_b32 v3, v3, 0
	v_bcnt_u32_b32 v3, v4, v3
	s_waitcnt lgkmcnt(0)
	v_add_u32_e32 v3, v58, v3
	ds_write_b32 v25, v3 offset:16
.LBB14_49:
	s_or_b64 exec, exec, s[24:25]
	; wave barrier
	s_waitcnt lgkmcnt(0)
	s_barrier
	ds_read2_b32 v[5:6], v16 offset0:4 offset1:5
	ds_read2_b32 v[3:4], v16 offset0:6 offset1:7
	ds_read_b32 v44, v16 offset:32
	v_min_u32_e32 v15, 0xc0, v15
	v_or_b32_e32 v15, 63, v15
	s_waitcnt lgkmcnt(1)
	v_add3_u32 v60, v6, v5, v3
	s_waitcnt lgkmcnt(0)
	v_add3_u32 v44, v60, v4, v44
	v_and_b32_e32 v60, 15, v13
	v_cmp_ne_u32_e64 s[24:25], 0, v60
	v_mov_b32_dpp v61, v44 row_shr:1 row_mask:0xf bank_mask:0xf
	v_cndmask_b32_e64 v61, 0, v61, s[24:25]
	v_add_u32_e32 v44, v61, v44
	v_cmp_lt_u32_e64 s[24:25], 1, v60
	s_nop 0
	v_mov_b32_dpp v61, v44 row_shr:2 row_mask:0xf bank_mask:0xf
	v_cndmask_b32_e64 v61, 0, v61, s[24:25]
	v_add_u32_e32 v44, v44, v61
	v_cmp_lt_u32_e64 s[24:25], 3, v60
	s_nop 0
	;; [unrolled: 5-line block ×3, first 2 shown]
	v_mov_b32_dpp v61, v44 row_shr:8 row_mask:0xf bank_mask:0xf
	v_cndmask_b32_e64 v60, 0, v61, s[24:25]
	v_add_u32_e32 v44, v44, v60
	v_bfe_i32 v61, v13, 4, 1
	v_cmp_lt_u32_e64 s[24:25], 31, v13
	v_mov_b32_dpp v60, v44 row_bcast:15 row_mask:0xf bank_mask:0xf
	v_and_b32_e32 v60, v61, v60
	v_add_u32_e32 v44, v44, v60
	s_nop 1
	v_mov_b32_dpp v60, v44 row_bcast:31 row_mask:0xf bank_mask:0xf
	v_cndmask_b32_e64 v60, 0, v60, s[24:25]
	v_add_u32_e32 v44, v44, v60
	v_lshrrev_b32_e32 v60, 6, v0
	v_cmp_eq_u32_e64 s[24:25], v0, v15
	s_and_saveexec_b64 s[26:27], s[24:25]
; %bb.50:
	v_lshlrev_b32_e32 v15, 2, v60
	ds_write_b32 v15, v44
; %bb.51:
	s_or_b64 exec, exec, s[26:27]
	v_cmp_gt_u32_e64 s[24:25], 4, v0
	s_waitcnt lgkmcnt(0)
	s_barrier
	s_and_saveexec_b64 s[26:27], s[24:25]
	s_cbranch_execz .LBB14_53
; %bb.52:
	v_lshlrev_b32_e32 v15, 2, v0
	ds_read_b32 v61, v15
	v_and_b32_e32 v62, 3, v13
	v_cmp_ne_u32_e64 s[24:25], 0, v62
	s_waitcnt lgkmcnt(0)
	v_mov_b32_dpp v63, v61 row_shr:1 row_mask:0xf bank_mask:0xf
	v_cndmask_b32_e64 v63, 0, v63, s[24:25]
	v_add_u32_e32 v61, v63, v61
	v_cmp_lt_u32_e64 s[24:25], 1, v62
	s_nop 0
	v_mov_b32_dpp v63, v61 row_shr:2 row_mask:0xf bank_mask:0xf
	v_cndmask_b32_e64 v62, 0, v63, s[24:25]
	v_add_u32_e32 v61, v61, v62
	ds_write_b32 v15, v61
.LBB14_53:
	s_or_b64 exec, exec, s[26:27]
	v_cmp_lt_u32_e64 s[24:25], 63, v0
	v_mov_b32_e32 v15, 0
	s_waitcnt lgkmcnt(0)
	s_barrier
	s_and_saveexec_b64 s[26:27], s[24:25]
; %bb.54:
	v_lshl_add_u32 v15, v60, 2, -4
	ds_read_b32 v15, v15
; %bb.55:
	s_or_b64 exec, exec, s[26:27]
	v_add_u32_e32 v60, -1, v13
	v_and_b32_e32 v61, 64, v13
	v_cmp_lt_i32_e64 s[24:25], v60, v61
	v_cndmask_b32_e64 v60, v60, v13, s[24:25]
	s_waitcnt lgkmcnt(0)
	v_add_u32_e32 v44, v15, v44
	v_lshlrev_b32_e32 v60, 2, v60
	ds_bpermute_b32 v44, v60, v44
	v_cmp_eq_u32_e64 s[24:25], 0, v13
	s_waitcnt lgkmcnt(0)
	v_cndmask_b32_e64 v15, v44, v15, s[24:25]
	v_cmp_ne_u32_e64 s[24:25], 0, v0
	v_cndmask_b32_e64 v15, 0, v15, s[24:25]
	v_add_u32_e32 v5, v15, v5
	v_add_u32_e32 v6, v5, v6
	;; [unrolled: 1-line block ×4, first 2 shown]
	ds_write2_b32 v16, v15, v5 offset0:4 offset1:5
	ds_write2_b32 v16, v6, v3 offset0:6 offset1:7
	ds_write_b32 v16, v4 offset:32
	s_waitcnt lgkmcnt(0)
	s_barrier
	ds_read_b32 v4, v20 offset:16
	ds_read_b32 v5, v24 offset:16
	;; [unrolled: 1-line block ×13, first 2 shown]
	v_add_u32_e32 v16, 1, v0
	s_movk_i32 s24, 0x100
	v_cmp_ne_u32_e64 s[24:25], s24, v16
	v_mov_b32_e32 v3, 0xc00
	s_and_saveexec_b64 s[26:27], s[24:25]
; %bb.56:
	v_mul_u32_u24_e32 v3, 20, v16
	ds_read_b32 v3, v3 offset:16
; %bb.57:
	s_or_b64 exec, exec, s[26:27]
	s_waitcnt lgkmcnt(12)
	v_add_u32_e32 v44, v4, v17
	s_waitcnt lgkmcnt(11)
	v_add3_u32 v43, v22, v19, v5
	v_lshlrev_b32_e32 v4, 1, v44
	s_waitcnt lgkmcnt(10)
	v_add3_u32 v42, v26, v23, v6
	s_waitcnt lgkmcnt(0)
	s_barrier
	ds_write_b16 v4, v12 offset:2048
	v_lshlrev_b32_e32 v4, 1, v43
	v_add3_u32 v41, v32, v27, v15
	ds_write_b16 v4, v18 offset:2048
	v_lshlrev_b32_e32 v4, 1, v42
	v_add3_u32 v40, v34, v33, v20
	;; [unrolled: 3-line block ×9, first 2 shown]
	ds_write_b16 v4, v7 offset:2048
	v_lshlrev_b32_e32 v4, 1, v34
	ds_write_b16 v4, v54 offset:2048
	v_lshlrev_b32_e32 v4, 1, v33
	ds_write_b16 v4, v8 offset:2048
	v_sub_u32_e32 v31, v3, v30
	v_lshl_or_b32 v3, s6, 8, v0
	v_mov_b32_e32 v4, 0
	v_lshlrev_b64 v[5:6], 2, v[3:4]
	v_mov_b32_e32 v9, s73
	v_add_co_u32_e64 v5, s[24:25], s72, v5
	v_addc_co_u32_e64 v6, s[24:25], v9, v6, s[24:25]
	v_or_b32_e32 v3, 2.0, v31
	s_mov_b64 s[26:27], 0
	s_brev_b32 s34, -4
	s_mov_b32 s35, s7
	v_mov_b32_e32 v10, 0
	s_waitcnt lgkmcnt(0)
	s_barrier
	global_store_dword v[5:6], v3, off
                                        ; implicit-def: $sgpr24_sgpr25
	s_branch .LBB14_60
.LBB14_58:                              ;   in Loop: Header=BB14_60 Depth=1
	s_or_b64 exec, exec, s[30:31]
.LBB14_59:                              ;   in Loop: Header=BB14_60 Depth=1
	s_or_b64 exec, exec, s[28:29]
	v_and_b32_e32 v7, 0x3fffffff, v3
	v_add_u32_e32 v10, v7, v10
	v_cmp_gt_i32_e64 s[24:25], -2.0, v3
	s_and_b64 s[28:29], exec, s[24:25]
	s_or_b64 s[26:27], s[28:29], s[26:27]
	s_andn2_b64 exec, exec, s[26:27]
	s_cbranch_execz .LBB14_65
.LBB14_60:                              ; =>This Loop Header: Depth=1
                                        ;     Child Loop BB14_63 Depth 2
	s_or_b64 s[24:25], s[24:25], exec
	s_cmp_eq_u32 s35, 0
	s_cbranch_scc1 .LBB14_64
; %bb.61:                               ;   in Loop: Header=BB14_60 Depth=1
	s_add_i32 s35, s35, -1
	v_lshl_or_b32 v3, s35, 8, v0
	v_lshlrev_b64 v[7:8], 2, v[3:4]
	v_add_co_u32_e64 v7, s[24:25], s72, v7
	v_addc_co_u32_e64 v8, s[24:25], v9, v8, s[24:25]
	global_load_dword v3, v[7:8], off glc
	s_waitcnt vmcnt(0)
	v_cmp_gt_u32_e64 s[24:25], 2.0, v3
	s_and_saveexec_b64 s[28:29], s[24:25]
	s_cbranch_execz .LBB14_59
; %bb.62:                               ;   in Loop: Header=BB14_60 Depth=1
	s_mov_b64 s[30:31], 0
.LBB14_63:                              ;   Parent Loop BB14_60 Depth=1
                                        ; =>  This Inner Loop Header: Depth=2
	global_load_dword v3, v[7:8], off glc
	s_waitcnt vmcnt(0)
	v_cmp_lt_u32_e64 s[24:25], s34, v3
	s_or_b64 s[30:31], s[24:25], s[30:31]
	s_andn2_b64 exec, exec, s[30:31]
	s_cbranch_execnz .LBB14_63
	s_branch .LBB14_58
.LBB14_64:                              ;   in Loop: Header=BB14_60 Depth=1
                                        ; implicit-def: $sgpr35
	s_and_b64 s[28:29], exec, s[24:25]
	s_or_b64 s[26:27], s[28:29], s[26:27]
	s_andn2_b64 exec, exec, s[26:27]
	s_cbranch_execnz .LBB14_60
.LBB14_65:
	s_or_b64 exec, exec, s[26:27]
	v_add_u32_e32 v3, v10, v31
	v_or_b32_e32 v3, 0x80000000, v3
	v_lshlrev_b32_e32 v32, 3, v0
	global_store_dword v[5:6], v3, off
	global_load_dwordx2 v[3:4], v32, s[64:65]
	v_sub_co_u32_e64 v5, s[24:25], v10, v30
	v_subb_co_u32_e64 v6, s[24:25], 0, 0, s[24:25]
	s_waitcnt vmcnt(0)
	v_add_co_u32_e64 v3, s[24:25], v5, v3
	v_addc_co_u32_e64 v4, s[24:25], v6, v4, s[24:25]
	v_cmp_gt_u32_e64 s[24:25], s70, v0
	ds_write_b64 v32, v[3:4]
	s_waitcnt lgkmcnt(0)
	s_barrier
	s_and_saveexec_b64 s[28:29], s[24:25]
	s_cbranch_execz .LBB14_67
; %bb.66:
	v_mad_i32_i24 v3, v0, -6, v32
	ds_read_u16 v5, v3 offset:2048
	v_mov_b32_e32 v6, s59
	v_lshlrev_b32_e32 v7, 1, v0
	s_waitcnt lgkmcnt(0)
	v_lshrrev_b32_sdwa v3, s68, v5 dst_sel:DWORD dst_unused:UNUSED_PAD src0_sel:DWORD src1_sel:WORD_0
	v_and_b32_e32 v3, s74, v3
	v_lshlrev_b32_e32 v3, 3, v3
	ds_read_b64 v[3:4], v3
	v_xor_b32_e32 v5, -1, v5
	s_waitcnt lgkmcnt(0)
	v_lshlrev_b64 v[3:4], 1, v[3:4]
	v_add_co_u32_e64 v3, s[26:27], s58, v3
	v_addc_co_u32_e64 v4, s[26:27], v6, v4, s[26:27]
	v_add_co_u32_e64 v3, s[26:27], v3, v7
	v_addc_co_u32_e64 v4, s[26:27], 0, v4, s[26:27]
	global_store_short v[3:4], v5, off
.LBB14_67:
	s_or_b64 exec, exec, s[28:29]
	v_or_b32_e32 v3, 0x100, v0
	v_cmp_gt_u32_e64 s[26:27], s70, v3
	s_and_saveexec_b64 s[30:31], s[26:27]
	s_cbranch_execz .LBB14_69
; %bb.68:
	v_mad_i32_i24 v3, v0, -6, v32
	ds_read_u16 v5, v3 offset:2560
	v_mov_b32_e32 v6, s59
	v_lshlrev_b32_e32 v7, 1, v0
	s_waitcnt lgkmcnt(0)
	v_lshrrev_b32_sdwa v3, s68, v5 dst_sel:DWORD dst_unused:UNUSED_PAD src0_sel:DWORD src1_sel:WORD_0
	v_and_b32_e32 v3, s74, v3
	v_lshlrev_b32_e32 v3, 3, v3
	ds_read_b64 v[3:4], v3
	v_xor_b32_e32 v5, -1, v5
	s_waitcnt lgkmcnt(0)
	v_lshlrev_b64 v[3:4], 1, v[3:4]
	v_add_co_u32_e64 v3, s[28:29], s58, v3
	v_addc_co_u32_e64 v4, s[28:29], v6, v4, s[28:29]
	v_add_co_u32_e64 v3, s[28:29], v3, v7
	v_addc_co_u32_e64 v4, s[28:29], 0, v4, s[28:29]
	global_store_short v[3:4], v5, off offset:512
.LBB14_69:
	s_or_b64 exec, exec, s[30:31]
	v_or_b32_e32 v45, 0x200, v0
	v_cmp_gt_u32_e64 s[28:29], s70, v45
	s_and_saveexec_b64 s[34:35], s[28:29]
	s_cbranch_execz .LBB14_71
; %bb.70:
	v_mad_i32_i24 v3, v0, -6, v32
	ds_read_u16 v5, v3 offset:3072
	v_mov_b32_e32 v6, s59
	v_lshlrev_b32_e32 v7, 1, v0
	s_waitcnt lgkmcnt(0)
	v_lshrrev_b32_sdwa v3, s68, v5 dst_sel:DWORD dst_unused:UNUSED_PAD src0_sel:DWORD src1_sel:WORD_0
	v_and_b32_e32 v3, s74, v3
	v_lshlrev_b32_e32 v3, 3, v3
	ds_read_b64 v[3:4], v3
	v_xor_b32_e32 v5, -1, v5
	s_waitcnt lgkmcnt(0)
	v_lshlrev_b64 v[3:4], 1, v[3:4]
	v_add_co_u32_e64 v3, s[30:31], s58, v3
	v_addc_co_u32_e64 v4, s[30:31], v6, v4, s[30:31]
	v_add_co_u32_e64 v3, s[30:31], v3, v7
	v_addc_co_u32_e64 v4, s[30:31], 0, v4, s[30:31]
	global_store_short v[3:4], v5, off offset:1024
.LBB14_71:
	;; [unrolled: 24-line block ×6, first 2 shown]
	s_or_b64 exec, exec, s[42:43]
	v_or_b32_e32 v50, 0x700, v0
	v_cmp_gt_u32_e64 s[40:41], s70, v50
	s_and_saveexec_b64 s[44:45], s[40:41]
	s_cbranch_execz .LBB14_81
; %bb.80:
	v_lshlrev_b32_e32 v5, 1, v0
	ds_read_u16 v6, v5 offset:5632
	v_mov_b32_e32 v7, s59
	s_waitcnt lgkmcnt(0)
	v_lshrrev_b32_sdwa v3, s68, v6 dst_sel:DWORD dst_unused:UNUSED_PAD src0_sel:DWORD src1_sel:WORD_0
	v_and_b32_e32 v3, s74, v3
	v_lshlrev_b32_e32 v3, 3, v3
	ds_read_b64 v[3:4], v3
	v_xor_b32_e32 v6, -1, v6
	s_waitcnt lgkmcnt(0)
	v_lshlrev_b64 v[3:4], 1, v[3:4]
	v_add_co_u32_e64 v3, s[42:43], s58, v3
	v_addc_co_u32_e64 v4, s[42:43], v7, v4, s[42:43]
	v_add_co_u32_e64 v3, s[42:43], v3, v5
	v_addc_co_u32_e64 v4, s[42:43], 0, v4, s[42:43]
	global_store_short v[3:4], v6, off offset:3584
.LBB14_81:
	s_or_b64 exec, exec, s[44:45]
	v_or_b32_e32 v51, 0x800, v0
	v_cmp_gt_u32_e64 s[42:43], s70, v51
	s_and_saveexec_b64 s[46:47], s[42:43]
	s_cbranch_execz .LBB14_83
; %bb.82:
	v_lshlrev_b32_e32 v3, 1, v0
	ds_read_u16 v5, v3 offset:6144
	v_mov_b32_e32 v6, s59
	v_lshlrev_b32_e32 v7, 1, v51
	s_waitcnt lgkmcnt(0)
	v_lshrrev_b32_sdwa v3, s68, v5 dst_sel:DWORD dst_unused:UNUSED_PAD src0_sel:DWORD src1_sel:WORD_0
	v_and_b32_e32 v3, s74, v3
	v_lshlrev_b32_e32 v3, 3, v3
	ds_read_b64 v[3:4], v3
	v_xor_b32_e32 v5, -1, v5
	s_waitcnt lgkmcnt(0)
	v_lshlrev_b64 v[3:4], 1, v[3:4]
	v_add_co_u32_e64 v3, s[44:45], s58, v3
	v_addc_co_u32_e64 v4, s[44:45], v6, v4, s[44:45]
	v_add_co_u32_e64 v3, s[44:45], v3, v7
	v_addc_co_u32_e64 v4, s[44:45], 0, v4, s[44:45]
	global_store_short v[3:4], v5, off
.LBB14_83:
	s_or_b64 exec, exec, s[46:47]
	v_or_b32_e32 v52, 0x900, v0
	v_cmp_gt_u32_e64 s[44:45], s70, v52
	s_and_saveexec_b64 s[48:49], s[44:45]
	s_cbranch_execz .LBB14_85
; %bb.84:
	v_lshlrev_b32_e32 v3, 1, v0
	ds_read_u16 v5, v3 offset:6656
	v_mov_b32_e32 v6, s59
	v_lshlrev_b32_e32 v7, 1, v52
	s_waitcnt lgkmcnt(0)
	v_lshrrev_b32_sdwa v3, s68, v5 dst_sel:DWORD dst_unused:UNUSED_PAD src0_sel:DWORD src1_sel:WORD_0
	v_and_b32_e32 v3, s74, v3
	v_lshlrev_b32_e32 v3, 3, v3
	ds_read_b64 v[3:4], v3
	v_xor_b32_e32 v5, -1, v5
	s_waitcnt lgkmcnt(0)
	v_lshlrev_b64 v[3:4], 1, v[3:4]
	v_add_co_u32_e64 v3, s[46:47], s58, v3
	v_addc_co_u32_e64 v4, s[46:47], v6, v4, s[46:47]
	v_add_co_u32_e64 v3, s[46:47], v3, v7
	v_addc_co_u32_e64 v4, s[46:47], 0, v4, s[46:47]
	global_store_short v[3:4], v5, off
.LBB14_85:
	;; [unrolled: 24-line block ×4, first 2 shown]
	s_or_b64 exec, exec, s[70:71]
	s_lshl_b64 s[52:53], s[54:55], 3
	s_add_u32 s52, s60, s52
	s_addc_u32 s53, s61, s53
	v_lshlrev_b32_e32 v3, 3, v13
	v_mov_b32_e32 v4, s53
	v_add_co_u32_e64 v3, s[52:53], s52, v3
	v_addc_co_u32_e64 v4, s[52:53], 0, v4, s[52:53]
	v_lshlrev_b32_e32 v5, 3, v14
	v_add_co_u32_e64 v27, s[52:53], v3, v5
	v_addc_co_u32_e64 v28, s[52:53], 0, v4, s[52:53]
                                        ; implicit-def: $vgpr3_vgpr4
	s_and_saveexec_b64 s[52:53], vcc
	s_xor_b64 s[52:53], exec, s[52:53]
	s_cbranch_execz .LBB14_101
; %bb.90:
	global_load_dwordx2 v[3:4], v[27:28], off
	s_or_b64 exec, exec, s[52:53]
                                        ; implicit-def: $vgpr5_vgpr6
	s_and_saveexec_b64 s[52:53], s[0:1]
	s_cbranch_execnz .LBB14_102
.LBB14_91:
	s_or_b64 exec, exec, s[52:53]
                                        ; implicit-def: $vgpr7_vgpr8
	s_and_saveexec_b64 s[0:1], s[2:3]
	s_cbranch_execz .LBB14_103
.LBB14_92:
	global_load_dwordx2 v[7:8], v[27:28], off offset:1024
	s_or_b64 exec, exec, s[0:1]
                                        ; implicit-def: $vgpr9_vgpr10
	s_and_saveexec_b64 s[0:1], s[50:51]
	s_cbranch_execnz .LBB14_104
.LBB14_93:
	s_or_b64 exec, exec, s[0:1]
                                        ; implicit-def: $vgpr11_vgpr12
	s_and_saveexec_b64 s[0:1], s[8:9]
	s_cbranch_execz .LBB14_105
.LBB14_94:
	global_load_dwordx2 v[11:12], v[27:28], off offset:2048
	s_or_b64 exec, exec, s[0:1]
                                        ; implicit-def: $vgpr13_vgpr14
	s_and_saveexec_b64 s[0:1], s[10:11]
	s_cbranch_execnz .LBB14_106
.LBB14_95:
	s_or_b64 exec, exec, s[0:1]
                                        ; implicit-def: $vgpr15_vgpr16
	s_and_saveexec_b64 s[0:1], s[12:13]
	s_cbranch_execz .LBB14_107
.LBB14_96:
	global_load_dwordx2 v[15:16], v[27:28], off offset:3072
	s_or_b64 exec, exec, s[0:1]
                                        ; implicit-def: $vgpr17_vgpr18
	s_and_saveexec_b64 s[0:1], s[14:15]
	s_cbranch_execnz .LBB14_108
.LBB14_97:
	s_or_b64 exec, exec, s[0:1]
                                        ; implicit-def: $vgpr19_vgpr20
	s_and_saveexec_b64 s[0:1], s[16:17]
	s_cbranch_execz .LBB14_109
.LBB14_98:
	v_add_co_u32_e32 v19, vcc, 0x1000, v27
	v_addc_co_u32_e32 v20, vcc, 0, v28, vcc
	global_load_dwordx2 v[19:20], v[19:20], off
	s_or_b64 exec, exec, s[0:1]
                                        ; implicit-def: $vgpr21_vgpr22
	s_and_saveexec_b64 s[0:1], s[18:19]
	s_cbranch_execnz .LBB14_110
.LBB14_99:
	s_or_b64 exec, exec, s[0:1]
                                        ; implicit-def: $vgpr23_vgpr24
	s_and_saveexec_b64 s[0:1], s[20:21]
	s_cbranch_execz .LBB14_111
.LBB14_100:
	v_add_co_u32_e32 v23, vcc, 0x1000, v27
	v_addc_co_u32_e32 v24, vcc, 0, v28, vcc
	global_load_dwordx2 v[23:24], v[23:24], off offset:1024
	s_or_b64 exec, exec, s[0:1]
                                        ; implicit-def: $vgpr25_vgpr26
	s_and_saveexec_b64 s[0:1], s[22:23]
	s_cbranch_execnz .LBB14_112
	s_branch .LBB14_113
.LBB14_101:
	s_or_b64 exec, exec, s[52:53]
                                        ; implicit-def: $vgpr5_vgpr6
	s_and_saveexec_b64 s[52:53], s[0:1]
	s_cbranch_execz .LBB14_91
.LBB14_102:
	global_load_dwordx2 v[5:6], v[27:28], off offset:512
	s_or_b64 exec, exec, s[52:53]
                                        ; implicit-def: $vgpr7_vgpr8
	s_and_saveexec_b64 s[0:1], s[2:3]
	s_cbranch_execnz .LBB14_92
.LBB14_103:
	s_or_b64 exec, exec, s[0:1]
                                        ; implicit-def: $vgpr9_vgpr10
	s_and_saveexec_b64 s[0:1], s[50:51]
	s_cbranch_execz .LBB14_93
.LBB14_104:
	global_load_dwordx2 v[9:10], v[27:28], off offset:1536
	s_or_b64 exec, exec, s[0:1]
                                        ; implicit-def: $vgpr11_vgpr12
	s_and_saveexec_b64 s[0:1], s[8:9]
	s_cbranch_execnz .LBB14_94
.LBB14_105:
	s_or_b64 exec, exec, s[0:1]
                                        ; implicit-def: $vgpr13_vgpr14
	s_and_saveexec_b64 s[0:1], s[10:11]
	s_cbranch_execz .LBB14_95
.LBB14_106:
	global_load_dwordx2 v[13:14], v[27:28], off offset:2560
	s_or_b64 exec, exec, s[0:1]
                                        ; implicit-def: $vgpr15_vgpr16
	s_and_saveexec_b64 s[0:1], s[12:13]
	s_cbranch_execnz .LBB14_96
.LBB14_107:
	s_or_b64 exec, exec, s[0:1]
                                        ; implicit-def: $vgpr17_vgpr18
	s_and_saveexec_b64 s[0:1], s[14:15]
	s_cbranch_execz .LBB14_97
.LBB14_108:
	global_load_dwordx2 v[17:18], v[27:28], off offset:3584
	s_or_b64 exec, exec, s[0:1]
                                        ; implicit-def: $vgpr19_vgpr20
	s_and_saveexec_b64 s[0:1], s[16:17]
	s_cbranch_execnz .LBB14_98
.LBB14_109:
	s_or_b64 exec, exec, s[0:1]
                                        ; implicit-def: $vgpr21_vgpr22
	s_and_saveexec_b64 s[0:1], s[18:19]
	s_cbranch_execz .LBB14_99
.LBB14_110:
	v_add_co_u32_e32 v21, vcc, 0x1000, v27
	v_addc_co_u32_e32 v22, vcc, 0, v28, vcc
	global_load_dwordx2 v[21:22], v[21:22], off offset:512
	s_or_b64 exec, exec, s[0:1]
                                        ; implicit-def: $vgpr23_vgpr24
	s_and_saveexec_b64 s[0:1], s[20:21]
	s_cbranch_execnz .LBB14_100
.LBB14_111:
	s_or_b64 exec, exec, s[0:1]
                                        ; implicit-def: $vgpr25_vgpr26
	s_and_saveexec_b64 s[0:1], s[22:23]
	s_cbranch_execz .LBB14_113
.LBB14_112:
	v_add_co_u32_e32 v25, vcc, 0x1000, v27
	v_addc_co_u32_e32 v26, vcc, 0, v28, vcc
	global_load_dwordx2 v[25:26], v[25:26], off offset:1536
.LBB14_113:
	s_or_b64 exec, exec, s[0:1]
	v_mov_b32_e32 v62, 0
	v_mov_b32_e32 v64, 0
	s_and_saveexec_b64 s[0:1], s[24:25]
	s_cbranch_execz .LBB14_115
; %bb.114:
	v_lshlrev_b32_e32 v27, 1, v0
	ds_read_u16 v27, v27 offset:2048
	s_waitcnt lgkmcnt(0)
	v_lshrrev_b32_e32 v27, s68, v27
	v_and_b32_e32 v64, s74, v27
.LBB14_115:
	s_or_b64 exec, exec, s[0:1]
	s_and_saveexec_b64 s[0:1], s[26:27]
	s_cbranch_execz .LBB14_117
; %bb.116:
	v_lshlrev_b32_e32 v27, 1, v0
	ds_read_u16 v27, v27 offset:2560
	s_waitcnt lgkmcnt(0)
	v_lshrrev_b32_e32 v27, s68, v27
	v_and_b32_e32 v62, s74, v27
.LBB14_117:
	s_or_b64 exec, exec, s[0:1]
	v_mov_b32_e32 v60, 0
	v_mov_b32_e32 v63, 0
	s_and_saveexec_b64 s[0:1], s[28:29]
	s_cbranch_execz .LBB14_119
; %bb.118:
	v_lshlrev_b32_e32 v27, 1, v0
	ds_read_u16 v27, v27 offset:3072
	s_waitcnt lgkmcnt(0)
	v_lshrrev_b32_e32 v27, s68, v27
	v_and_b32_e32 v63, s74, v27
.LBB14_119:
	s_or_b64 exec, exec, s[0:1]
	s_and_saveexec_b64 s[0:1], s[30:31]
	s_cbranch_execz .LBB14_121
; %bb.120:
	v_lshlrev_b32_e32 v27, 1, v0
	ds_read_u16 v27, v27 offset:3584
	s_waitcnt lgkmcnt(0)
	v_lshrrev_b32_e32 v27, s68, v27
	v_and_b32_e32 v60, s74, v27
.LBB14_121:
	;; [unrolled: 22-line block ×6, first 2 shown]
	s_or_b64 exec, exec, s[0:1]
	v_lshlrev_b32_e32 v44, 3, v44
	s_waitcnt vmcnt(0)
	s_barrier
	ds_write_b64 v44, v[3:4] offset:2048
	v_lshlrev_b32_e32 v3, 3, v43
	ds_write_b64 v3, v[5:6] offset:2048
	v_lshlrev_b32_e32 v3, 3, v42
	;; [unrolled: 2-line block ×11, first 2 shown]
	ds_write_b64 v3, v[25:26] offset:2048
	s_waitcnt lgkmcnt(0)
	s_barrier
	s_and_saveexec_b64 s[0:1], s[24:25]
	s_cbranch_execz .LBB14_196
; %bb.138:
	v_lshlrev_b32_e32 v3, 3, v64
	ds_read_b64 v[3:4], v3
	ds_read_b64 v[5:6], v32 offset:2048
	v_mov_b32_e32 v7, s63
	s_waitcnt lgkmcnt(1)
	v_lshlrev_b64 v[3:4], 3, v[3:4]
	v_add_co_u32_e32 v3, vcc, s62, v3
	v_addc_co_u32_e32 v4, vcc, v7, v4, vcc
	v_add_co_u32_e32 v3, vcc, v3, v32
	v_addc_co_u32_e32 v4, vcc, 0, v4, vcc
	s_waitcnt lgkmcnt(0)
	global_store_dwordx2 v[3:4], v[5:6], off
	s_or_b64 exec, exec, s[0:1]
	s_and_saveexec_b64 s[0:1], s[26:27]
	s_cbranch_execnz .LBB14_197
.LBB14_139:
	s_or_b64 exec, exec, s[0:1]
	s_and_saveexec_b64 s[0:1], s[28:29]
	s_cbranch_execz .LBB14_198
.LBB14_140:
	v_lshlrev_b32_e32 v3, 3, v63
	ds_read_b64 v[3:4], v3
	ds_read_b64 v[5:6], v32 offset:6144
	v_mov_b32_e32 v7, s63
	s_waitcnt lgkmcnt(1)
	v_lshlrev_b64 v[3:4], 3, v[3:4]
	v_add_co_u32_e32 v3, vcc, s62, v3
	v_addc_co_u32_e32 v4, vcc, v7, v4, vcc
	v_lshlrev_b32_e32 v7, 3, v45
	v_add_co_u32_e32 v3, vcc, v3, v7
	v_addc_co_u32_e32 v4, vcc, 0, v4, vcc
	s_waitcnt lgkmcnt(0)
	global_store_dwordx2 v[3:4], v[5:6], off
	s_or_b64 exec, exec, s[0:1]
	s_and_saveexec_b64 s[0:1], s[30:31]
	s_cbranch_execnz .LBB14_199
.LBB14_141:
	s_or_b64 exec, exec, s[0:1]
	s_and_saveexec_b64 s[0:1], s[34:35]
	s_cbranch_execz .LBB14_200
.LBB14_142:
	v_lshlrev_b32_e32 v3, 3, v61
	ds_read_b64 v[3:4], v3
	ds_read_b64 v[5:6], v32 offset:10240
	v_mov_b32_e32 v7, s63
	s_waitcnt lgkmcnt(1)
	v_lshlrev_b64 v[3:4], 3, v[3:4]
	v_add_co_u32_e32 v3, vcc, s62, v3
	v_addc_co_u32_e32 v4, vcc, v7, v4, vcc
	v_lshlrev_b32_e32 v7, 3, v47
	v_add_co_u32_e32 v3, vcc, v3, v7
	v_addc_co_u32_e32 v4, vcc, 0, v4, vcc
	s_waitcnt lgkmcnt(0)
	global_store_dwordx2 v[3:4], v[5:6], off
	s_or_b64 exec, exec, s[0:1]
	s_and_saveexec_b64 s[0:1], s[36:37]
	s_cbranch_execnz .LBB14_201
.LBB14_143:
	s_or_b64 exec, exec, s[0:1]
	s_and_saveexec_b64 s[0:1], s[38:39]
	s_cbranch_execz .LBB14_202
.LBB14_144:
	v_lshlrev_b32_e32 v3, 3, v59
	ds_read_b64 v[3:4], v3
	ds_read_b64 v[5:6], v32 offset:14336
	v_mov_b32_e32 v7, s63
	s_waitcnt lgkmcnt(1)
	v_lshlrev_b64 v[3:4], 3, v[3:4]
	v_add_co_u32_e32 v3, vcc, s62, v3
	v_addc_co_u32_e32 v4, vcc, v7, v4, vcc
	v_lshlrev_b32_e32 v7, 3, v49
	v_add_co_u32_e32 v3, vcc, v3, v7
	v_addc_co_u32_e32 v4, vcc, 0, v4, vcc
	s_waitcnt lgkmcnt(0)
	global_store_dwordx2 v[3:4], v[5:6], off
	s_or_b64 exec, exec, s[0:1]
	s_and_saveexec_b64 s[0:1], s[40:41]
	s_cbranch_execnz .LBB14_203
.LBB14_145:
	s_or_b64 exec, exec, s[0:1]
	s_and_saveexec_b64 s[0:1], s[42:43]
	s_cbranch_execz .LBB14_204
.LBB14_146:
	v_lshlrev_b32_e32 v3, 3, v57
	ds_read_b64 v[3:4], v3
	ds_read_b64 v[5:6], v32 offset:18432
	v_mov_b32_e32 v7, s63
	s_waitcnt lgkmcnt(1)
	v_lshlrev_b64 v[3:4], 3, v[3:4]
	v_add_co_u32_e32 v3, vcc, s62, v3
	v_addc_co_u32_e32 v4, vcc, v7, v4, vcc
	v_lshlrev_b32_e32 v7, 3, v51
	v_add_co_u32_e32 v3, vcc, v3, v7
	v_addc_co_u32_e32 v4, vcc, 0, v4, vcc
	s_waitcnt lgkmcnt(0)
	global_store_dwordx2 v[3:4], v[5:6], off
	s_or_b64 exec, exec, s[0:1]
	s_and_saveexec_b64 s[0:1], s[44:45]
	s_cbranch_execnz .LBB14_205
.LBB14_147:
	s_or_b64 exec, exec, s[0:1]
	s_and_saveexec_b64 s[0:1], s[46:47]
	s_cbranch_execz .LBB14_206
.LBB14_148:
	v_lshlrev_b32_e32 v3, 3, v55
	ds_read_b64 v[3:4], v3
	ds_read_b64 v[5:6], v32 offset:22528
	v_mov_b32_e32 v7, s63
	s_waitcnt lgkmcnt(1)
	v_lshlrev_b64 v[3:4], 3, v[3:4]
	v_add_co_u32_e32 v3, vcc, s62, v3
	v_addc_co_u32_e32 v4, vcc, v7, v4, vcc
	v_lshlrev_b32_e32 v7, 3, v53
	v_add_co_u32_e32 v3, vcc, v3, v7
	v_addc_co_u32_e32 v4, vcc, 0, v4, vcc
	s_waitcnt lgkmcnt(0)
	global_store_dwordx2 v[3:4], v[5:6], off
	s_or_b64 exec, exec, s[0:1]
	s_and_saveexec_b64 s[0:1], s[48:49]
	s_cbranch_execnz .LBB14_207
.LBB14_149:
	s_or_b64 exec, exec, s[0:1]
	s_add_i32 s33, s33, -1
	s_cmp_eq_u32 s6, s33
	s_cbranch_scc0 .LBB14_151
.LBB14_150:
	ds_read_b64 v[3:4], v32
	v_add_co_u32_e32 v5, vcc, v31, v30
	v_addc_co_u32_e64 v6, s[0:1], 0, 0, vcc
	s_waitcnt lgkmcnt(0)
	v_add_co_u32_e32 v3, vcc, v5, v3
	v_addc_co_u32_e32 v4, vcc, v6, v4, vcc
	global_store_dwordx2 v32, v[3:4], s[66:67]
.LBB14_151:
	s_mov_b64 s[0:1], 0
.LBB14_152:
	s_and_b64 vcc, exec, s[0:1]
	s_cbranch_vccz .LBB14_195
; %bb.153:
	s_mov_b32 s55, 0
	s_lshl_b64 s[0:1], s[54:55], 1
	v_mbcnt_hi_u32_b32 v8, -1, v29
	s_add_u32 s0, s56, s0
	v_lshlrev_b32_e32 v4, 1, v8
	v_add_co_u32_e32 v4, vcc, s0, v4
	s_load_dword s8, s[4:5], 0x50
	s_load_dword s0, s[4:5], 0x5c
	s_addc_u32 s1, s57, s1
	v_and_b32_e32 v9, 0xc0, v0
	v_mul_u32_u24_e32 v7, 12, v9
	v_mov_b32_e32 v5, s1
	s_add_u32 s1, s4, 0x50
	v_addc_co_u32_e32 v5, vcc, 0, v5, vcc
	v_lshlrev_b32_e32 v6, 1, v7
	s_addc_u32 s2, s5, 0
	s_waitcnt lgkmcnt(0)
	s_lshr_b32 s3, s0, 16
	v_add_co_u32_e32 v4, vcc, v4, v6
	s_cmp_lt_u32 s6, s8
	v_addc_co_u32_e32 v5, vcc, 0, v5, vcc
	s_cselect_b32 s0, 12, 18
	global_load_ushort v10, v[4:5], off
	s_add_u32 s0, s1, s0
	v_mov_b32_e32 v3, 0
	s_addc_u32 s1, s2, 0
	global_load_ushort v12, v3, s[0:1]
	v_mul_u32_u24_e32 v6, 20, v0
	ds_write2_b32 v6, v3, v3 offset0:4 offset1:5
	ds_write2_b32 v6, v3, v3 offset0:6 offset1:7
	ds_write_b32 v6, v3 offset:32
	global_load_ushort v11, v[4:5], off offset:128
	global_load_ushort v15, v[4:5], off offset:256
	;; [unrolled: 1-line block ×11, first 2 shown]
	s_lshl_b32 s0, -1, s69
	v_mad_u32_u24 v1, v2, s3, v1
	s_not_b32 s9, s0
	s_waitcnt vmcnt(0) lgkmcnt(0)
	s_barrier
	; wave barrier
	v_xor_b32_e32 v5, -1, v10
	v_lshrrev_b32_sdwa v2, s68, v5 dst_sel:DWORD dst_unused:UNUSED_PAD src0_sel:DWORD src1_sel:WORD_0
	v_and_b32_e32 v13, s9, v2
	v_lshlrev_b32_e32 v4, 30, v13
	v_mad_u64_u32 v[1:2], s[0:1], v1, v12, v[0:1]
	v_and_b32_e32 v2, 1, v13
	v_add_co_u32_e32 v10, vcc, -1, v2
	v_addc_co_u32_e64 v12, s[0:1], 0, -1, vcc
	v_cmp_ne_u32_e32 vcc, 0, v2
	v_cmp_gt_i64_e64 s[0:1], 0, v[3:4]
	v_not_b32_e32 v2, v4
	v_lshlrev_b32_e32 v4, 29, v13
	v_xor_b32_e32 v12, vcc_hi, v12
	v_xor_b32_e32 v10, vcc_lo, v10
	v_ashrrev_i32_e32 v2, 31, v2
	v_cmp_gt_i64_e32 vcc, 0, v[3:4]
	v_not_b32_e32 v14, v4
	v_lshlrev_b32_e32 v4, 28, v13
	v_and_b32_e32 v12, exec_hi, v12
	v_and_b32_e32 v10, exec_lo, v10
	v_xor_b32_e32 v16, s1, v2
	v_xor_b32_e32 v2, s0, v2
	v_ashrrev_i32_e32 v14, 31, v14
	v_cmp_gt_i64_e64 s[0:1], 0, v[3:4]
	v_not_b32_e32 v17, v4
	v_lshlrev_b32_e32 v4, 27, v13
	v_lshrrev_b32_e32 v1, 6, v1
	v_and_b32_e32 v12, v12, v16
	v_and_b32_e32 v2, v10, v2
	v_xor_b32_e32 v10, vcc_hi, v14
	v_xor_b32_e32 v14, vcc_lo, v14
	v_ashrrev_i32_e32 v16, 31, v17
	v_cmp_gt_i64_e32 vcc, 0, v[3:4]
	v_not_b32_e32 v4, v4
	v_lshlrev_b32_e32 v20, 2, v1
	v_and_b32_e32 v1, v12, v10
	v_and_b32_e32 v2, v2, v14
	v_xor_b32_e32 v12, s1, v16
	v_xor_b32_e32 v14, s0, v16
	v_ashrrev_i32_e32 v4, 31, v4
	v_and_b32_e32 v1, v1, v12
	v_and_b32_e32 v2, v2, v14
	v_xor_b32_e32 v12, vcc_hi, v4
	v_xor_b32_e32 v4, vcc_lo, v4
	v_and_b32_e32 v2, v2, v4
	v_lshlrev_b32_e32 v4, 26, v13
	v_cmp_gt_i64_e32 vcc, 0, v[3:4]
	v_not_b32_e32 v4, v4
	v_ashrrev_i32_e32 v4, 31, v4
	v_and_b32_e32 v1, v1, v12
	v_xor_b32_e32 v12, vcc_hi, v4
	v_xor_b32_e32 v4, vcc_lo, v4
	v_and_b32_e32 v2, v2, v4
	v_lshlrev_b32_e32 v4, 25, v13
	v_cmp_gt_i64_e32 vcc, 0, v[3:4]
	v_not_b32_e32 v4, v4
	v_ashrrev_i32_e32 v4, 31, v4
	v_and_b32_e32 v1, v1, v12
	v_xor_b32_e32 v12, vcc_hi, v4
	v_xor_b32_e32 v4, vcc_lo, v4
	v_and_b32_e32 v1, v1, v12
	v_and_b32_e32 v12, v2, v4
	v_lshlrev_b32_e32 v4, 24, v13
	v_cmp_gt_i64_e32 vcc, 0, v[3:4]
	v_not_b32_e32 v2, v4
	v_ashrrev_i32_e32 v2, 31, v2
	v_mad_u32_u24 v10, v13, 20, v20
	v_xor_b32_e32 v4, vcc_hi, v2
	v_xor_b32_e32 v13, vcc_lo, v2
	v_and_b32_e32 v2, v1, v4
	v_and_b32_e32 v1, v12, v13
	v_mbcnt_lo_u32_b32 v4, v1, 0
	v_mbcnt_hi_u32_b32 v12, v2, v4
	v_cmp_ne_u64_e32 vcc, 0, v[1:2]
	v_cmp_eq_u32_e64 s[0:1], 0, v12
	s_and_b64 s[2:3], vcc, s[0:1]
	s_and_saveexec_b64 s[0:1], s[2:3]
; %bb.154:
	v_bcnt_u32_b32 v1, v1, 0
	v_bcnt_u32_b32 v1, v2, v1
	ds_write_b32 v10, v1 offset:16
; %bb.155:
	s_or_b64 exec, exec, s[0:1]
	v_xor_b32_e32 v11, -1, v11
	v_lshrrev_b32_sdwa v1, s68, v11 dst_sel:DWORD dst_unused:UNUSED_PAD src0_sel:DWORD src1_sel:WORD_0
	v_and_b32_e32 v1, s9, v1
	v_and_b32_e32 v2, 1, v1
	v_add_co_u32_e32 v4, vcc, -1, v2
	v_addc_co_u32_e64 v16, s[0:1], 0, -1, vcc
	v_cmp_ne_u32_e32 vcc, 0, v2
	v_xor_b32_e32 v4, vcc_lo, v4
	v_xor_b32_e32 v2, vcc_hi, v16
	v_and_b32_e32 v16, exec_lo, v4
	v_lshlrev_b32_e32 v4, 30, v1
	v_cmp_gt_i64_e32 vcc, 0, v[3:4]
	v_not_b32_e32 v4, v4
	v_ashrrev_i32_e32 v4, 31, v4
	v_xor_b32_e32 v17, vcc_hi, v4
	v_xor_b32_e32 v4, vcc_lo, v4
	v_and_b32_e32 v16, v16, v4
	v_lshlrev_b32_e32 v4, 29, v1
	v_cmp_gt_i64_e32 vcc, 0, v[3:4]
	v_not_b32_e32 v4, v4
	v_and_b32_e32 v2, exec_hi, v2
	v_ashrrev_i32_e32 v4, 31, v4
	v_and_b32_e32 v2, v2, v17
	v_xor_b32_e32 v17, vcc_hi, v4
	v_xor_b32_e32 v4, vcc_lo, v4
	v_and_b32_e32 v16, v16, v4
	v_lshlrev_b32_e32 v4, 28, v1
	v_cmp_gt_i64_e32 vcc, 0, v[3:4]
	v_not_b32_e32 v4, v4
	v_ashrrev_i32_e32 v4, 31, v4
	v_and_b32_e32 v2, v2, v17
	v_xor_b32_e32 v17, vcc_hi, v4
	v_xor_b32_e32 v4, vcc_lo, v4
	v_and_b32_e32 v16, v16, v4
	v_lshlrev_b32_e32 v4, 27, v1
	v_cmp_gt_i64_e32 vcc, 0, v[3:4]
	v_not_b32_e32 v4, v4
	;; [unrolled: 8-line block ×4, first 2 shown]
	v_ashrrev_i32_e32 v4, 31, v4
	v_and_b32_e32 v2, v2, v17
	v_xor_b32_e32 v17, vcc_hi, v4
	v_xor_b32_e32 v4, vcc_lo, v4
	v_and_b32_e32 v16, v16, v4
	v_lshlrev_b32_e32 v4, 24, v1
	v_mad_u32_u24 v14, v1, 20, v20
	v_cmp_gt_i64_e32 vcc, 0, v[3:4]
	v_not_b32_e32 v1, v4
	v_ashrrev_i32_e32 v1, 31, v1
	v_xor_b32_e32 v3, vcc_hi, v1
	v_xor_b32_e32 v1, vcc_lo, v1
	; wave barrier
	ds_read_b32 v13, v14 offset:16
	v_and_b32_e32 v2, v2, v17
	v_and_b32_e32 v1, v16, v1
	;; [unrolled: 1-line block ×3, first 2 shown]
	v_mbcnt_lo_u32_b32 v3, v1, 0
	v_mbcnt_hi_u32_b32 v16, v2, v3
	v_cmp_ne_u64_e32 vcc, 0, v[1:2]
	v_cmp_eq_u32_e64 s[0:1], 0, v16
	s_and_b64 s[2:3], vcc, s[0:1]
	; wave barrier
	s_and_saveexec_b64 s[0:1], s[2:3]
	s_cbranch_execz .LBB14_157
; %bb.156:
	v_bcnt_u32_b32 v1, v1, 0
	v_bcnt_u32_b32 v1, v2, v1
	s_waitcnt lgkmcnt(0)
	v_add_u32_e32 v1, v13, v1
	ds_write_b32 v14, v1 offset:16
.LBB14_157:
	s_or_b64 exec, exec, s[0:1]
	v_xor_b32_e32 v15, -1, v15
	v_lshrrev_b32_sdwa v1, s68, v15 dst_sel:DWORD dst_unused:UNUSED_PAD src0_sel:DWORD src1_sel:WORD_0
	v_and_b32_e32 v3, s9, v1
	v_and_b32_e32 v2, 1, v3
	v_add_co_u32_e32 v4, vcc, -1, v2
	v_addc_co_u32_e64 v22, s[0:1], 0, -1, vcc
	v_cmp_ne_u32_e32 vcc, 0, v2
	v_xor_b32_e32 v2, vcc_hi, v22
	v_mov_b32_e32 v1, 0
	v_and_b32_e32 v22, exec_hi, v2
	v_lshlrev_b32_e32 v2, 30, v3
	v_xor_b32_e32 v4, vcc_lo, v4
	v_cmp_gt_i64_e32 vcc, 0, v[1:2]
	v_not_b32_e32 v2, v2
	v_ashrrev_i32_e32 v2, 31, v2
	v_and_b32_e32 v4, exec_lo, v4
	v_xor_b32_e32 v23, vcc_hi, v2
	v_xor_b32_e32 v2, vcc_lo, v2
	v_and_b32_e32 v4, v4, v2
	v_lshlrev_b32_e32 v2, 29, v3
	v_cmp_gt_i64_e32 vcc, 0, v[1:2]
	v_not_b32_e32 v2, v2
	v_ashrrev_i32_e32 v2, 31, v2
	v_and_b32_e32 v22, v22, v23
	v_xor_b32_e32 v23, vcc_hi, v2
	v_xor_b32_e32 v2, vcc_lo, v2
	v_and_b32_e32 v4, v4, v2
	v_lshlrev_b32_e32 v2, 28, v3
	v_cmp_gt_i64_e32 vcc, 0, v[1:2]
	v_not_b32_e32 v2, v2
	v_ashrrev_i32_e32 v2, 31, v2
	v_and_b32_e32 v22, v22, v23
	v_xor_b32_e32 v23, vcc_hi, v2
	v_xor_b32_e32 v2, vcc_lo, v2
	v_and_b32_e32 v4, v4, v2
	v_lshlrev_b32_e32 v2, 27, v3
	v_cmp_gt_i64_e32 vcc, 0, v[1:2]
	v_not_b32_e32 v2, v2
	v_ashrrev_i32_e32 v2, 31, v2
	v_and_b32_e32 v22, v22, v23
	v_xor_b32_e32 v23, vcc_hi, v2
	v_xor_b32_e32 v2, vcc_lo, v2
	v_and_b32_e32 v4, v4, v2
	v_lshlrev_b32_e32 v2, 26, v3
	v_cmp_gt_i64_e32 vcc, 0, v[1:2]
	v_not_b32_e32 v2, v2
	v_ashrrev_i32_e32 v2, 31, v2
	v_and_b32_e32 v22, v22, v23
	v_xor_b32_e32 v23, vcc_hi, v2
	v_xor_b32_e32 v2, vcc_lo, v2
	v_and_b32_e32 v4, v4, v2
	v_lshlrev_b32_e32 v2, 25, v3
	v_cmp_gt_i64_e32 vcc, 0, v[1:2]
	v_not_b32_e32 v2, v2
	v_ashrrev_i32_e32 v2, 31, v2
	v_and_b32_e32 v22, v22, v23
	v_xor_b32_e32 v23, vcc_hi, v2
	v_xor_b32_e32 v2, vcc_lo, v2
	v_and_b32_e32 v4, v4, v2
	v_lshlrev_b32_e32 v2, 24, v3
	v_cmp_gt_i64_e32 vcc, 0, v[1:2]
	v_not_b32_e32 v2, v2
	v_ashrrev_i32_e32 v2, 31, v2
	v_mad_u32_u24 v19, v3, 20, v20
	v_xor_b32_e32 v3, vcc_hi, v2
	v_xor_b32_e32 v2, vcc_lo, v2
	; wave barrier
	ds_read_b32 v17, v19 offset:16
	v_and_b32_e32 v22, v22, v23
	v_and_b32_e32 v2, v4, v2
	v_and_b32_e32 v3, v22, v3
	v_mbcnt_lo_u32_b32 v4, v2, 0
	v_mbcnt_hi_u32_b32 v22, v3, v4
	v_cmp_ne_u64_e32 vcc, 0, v[2:3]
	v_cmp_eq_u32_e64 s[0:1], 0, v22
	s_and_b64 s[2:3], vcc, s[0:1]
	; wave barrier
	s_and_saveexec_b64 s[0:1], s[2:3]
	s_cbranch_execz .LBB14_159
; %bb.158:
	v_bcnt_u32_b32 v2, v2, 0
	v_bcnt_u32_b32 v2, v3, v2
	s_waitcnt lgkmcnt(0)
	v_add_u32_e32 v2, v17, v2
	ds_write_b32 v19, v2 offset:16
.LBB14_159:
	s_or_b64 exec, exec, s[0:1]
	v_xor_b32_e32 v21, -1, v21
	v_lshrrev_b32_sdwa v2, s68, v21 dst_sel:DWORD dst_unused:UNUSED_PAD src0_sel:DWORD src1_sel:WORD_0
	v_and_b32_e32 v3, s9, v2
	v_and_b32_e32 v2, 1, v3
	v_add_co_u32_e32 v4, vcc, -1, v2
	v_addc_co_u32_e64 v27, s[0:1], 0, -1, vcc
	v_cmp_ne_u32_e32 vcc, 0, v2
	v_xor_b32_e32 v2, vcc_hi, v27
	v_and_b32_e32 v27, exec_hi, v2
	v_lshlrev_b32_e32 v2, 30, v3
	v_xor_b32_e32 v4, vcc_lo, v4
	v_cmp_gt_i64_e32 vcc, 0, v[1:2]
	v_not_b32_e32 v2, v2
	v_ashrrev_i32_e32 v2, 31, v2
	v_and_b32_e32 v4, exec_lo, v4
	v_xor_b32_e32 v28, vcc_hi, v2
	v_xor_b32_e32 v2, vcc_lo, v2
	v_and_b32_e32 v4, v4, v2
	v_lshlrev_b32_e32 v2, 29, v3
	v_cmp_gt_i64_e32 vcc, 0, v[1:2]
	v_not_b32_e32 v2, v2
	v_ashrrev_i32_e32 v2, 31, v2
	v_and_b32_e32 v27, v27, v28
	v_xor_b32_e32 v28, vcc_hi, v2
	v_xor_b32_e32 v2, vcc_lo, v2
	v_and_b32_e32 v4, v4, v2
	v_lshlrev_b32_e32 v2, 28, v3
	v_cmp_gt_i64_e32 vcc, 0, v[1:2]
	v_not_b32_e32 v2, v2
	v_ashrrev_i32_e32 v2, 31, v2
	v_and_b32_e32 v27, v27, v28
	;; [unrolled: 8-line block ×5, first 2 shown]
	v_xor_b32_e32 v28, vcc_hi, v2
	v_xor_b32_e32 v2, vcc_lo, v2
	v_and_b32_e32 v4, v4, v2
	v_lshlrev_b32_e32 v2, 24, v3
	v_cmp_gt_i64_e32 vcc, 0, v[1:2]
	v_not_b32_e32 v1, v2
	v_ashrrev_i32_e32 v1, 31, v1
	v_mad_u32_u24 v25, v3, 20, v20
	v_xor_b32_e32 v2, vcc_hi, v1
	v_xor_b32_e32 v1, vcc_lo, v1
	; wave barrier
	ds_read_b32 v23, v25 offset:16
	v_and_b32_e32 v27, v27, v28
	v_and_b32_e32 v1, v4, v1
	;; [unrolled: 1-line block ×3, first 2 shown]
	v_mbcnt_lo_u32_b32 v3, v1, 0
	v_mbcnt_hi_u32_b32 v27, v2, v3
	v_cmp_ne_u64_e32 vcc, 0, v[1:2]
	v_cmp_eq_u32_e64 s[0:1], 0, v27
	s_and_b64 s[2:3], vcc, s[0:1]
	; wave barrier
	s_and_saveexec_b64 s[0:1], s[2:3]
	s_cbranch_execz .LBB14_161
; %bb.160:
	v_bcnt_u32_b32 v1, v1, 0
	v_bcnt_u32_b32 v1, v2, v1
	s_waitcnt lgkmcnt(0)
	v_add_u32_e32 v1, v23, v1
	ds_write_b32 v25, v1 offset:16
.LBB14_161:
	s_or_b64 exec, exec, s[0:1]
	v_xor_b32_e32 v26, -1, v26
	v_lshrrev_b32_sdwa v1, s68, v26 dst_sel:DWORD dst_unused:UNUSED_PAD src0_sel:DWORD src1_sel:WORD_0
	v_and_b32_e32 v3, s9, v1
	v_and_b32_e32 v2, 1, v3
	v_add_co_u32_e32 v4, vcc, -1, v2
	v_addc_co_u32_e64 v32, s[0:1], 0, -1, vcc
	v_cmp_ne_u32_e32 vcc, 0, v2
	v_xor_b32_e32 v2, vcc_hi, v32
	v_mov_b32_e32 v1, 0
	v_and_b32_e32 v32, exec_hi, v2
	v_lshlrev_b32_e32 v2, 30, v3
	v_xor_b32_e32 v4, vcc_lo, v4
	v_cmp_gt_i64_e32 vcc, 0, v[1:2]
	v_not_b32_e32 v2, v2
	v_ashrrev_i32_e32 v2, 31, v2
	v_and_b32_e32 v4, exec_lo, v4
	v_xor_b32_e32 v33, vcc_hi, v2
	v_xor_b32_e32 v2, vcc_lo, v2
	v_and_b32_e32 v4, v4, v2
	v_lshlrev_b32_e32 v2, 29, v3
	v_cmp_gt_i64_e32 vcc, 0, v[1:2]
	v_not_b32_e32 v2, v2
	v_ashrrev_i32_e32 v2, 31, v2
	v_and_b32_e32 v32, v32, v33
	v_xor_b32_e32 v33, vcc_hi, v2
	v_xor_b32_e32 v2, vcc_lo, v2
	v_and_b32_e32 v4, v4, v2
	v_lshlrev_b32_e32 v2, 28, v3
	v_cmp_gt_i64_e32 vcc, 0, v[1:2]
	v_not_b32_e32 v2, v2
	v_ashrrev_i32_e32 v2, 31, v2
	v_and_b32_e32 v32, v32, v33
	;; [unrolled: 8-line block ×5, first 2 shown]
	v_xor_b32_e32 v33, vcc_hi, v2
	v_xor_b32_e32 v2, vcc_lo, v2
	v_and_b32_e32 v4, v4, v2
	v_lshlrev_b32_e32 v2, 24, v3
	v_cmp_gt_i64_e32 vcc, 0, v[1:2]
	v_not_b32_e32 v2, v2
	v_ashrrev_i32_e32 v2, 31, v2
	v_mad_u32_u24 v30, v3, 20, v20
	v_xor_b32_e32 v3, vcc_hi, v2
	v_xor_b32_e32 v2, vcc_lo, v2
	; wave barrier
	ds_read_b32 v28, v30 offset:16
	v_and_b32_e32 v32, v32, v33
	v_and_b32_e32 v2, v4, v2
	;; [unrolled: 1-line block ×3, first 2 shown]
	v_mbcnt_lo_u32_b32 v4, v2, 0
	v_mbcnt_hi_u32_b32 v32, v3, v4
	v_cmp_ne_u64_e32 vcc, 0, v[2:3]
	v_cmp_eq_u32_e64 s[0:1], 0, v32
	s_and_b64 s[2:3], vcc, s[0:1]
	; wave barrier
	s_and_saveexec_b64 s[0:1], s[2:3]
	s_cbranch_execz .LBB14_163
; %bb.162:
	v_bcnt_u32_b32 v2, v2, 0
	v_bcnt_u32_b32 v2, v3, v2
	s_waitcnt lgkmcnt(0)
	v_add_u32_e32 v2, v28, v2
	ds_write_b32 v30, v2 offset:16
.LBB14_163:
	s_or_b64 exec, exec, s[0:1]
	v_xor_b32_e32 v31, -1, v31
	v_lshrrev_b32_sdwa v2, s68, v31 dst_sel:DWORD dst_unused:UNUSED_PAD src0_sel:DWORD src1_sel:WORD_0
	v_and_b32_e32 v3, s9, v2
	v_and_b32_e32 v2, 1, v3
	v_add_co_u32_e32 v4, vcc, -1, v2
	v_addc_co_u32_e64 v37, s[0:1], 0, -1, vcc
	v_cmp_ne_u32_e32 vcc, 0, v2
	v_xor_b32_e32 v2, vcc_hi, v37
	v_and_b32_e32 v37, exec_hi, v2
	v_lshlrev_b32_e32 v2, 30, v3
	v_xor_b32_e32 v4, vcc_lo, v4
	v_cmp_gt_i64_e32 vcc, 0, v[1:2]
	v_not_b32_e32 v2, v2
	v_ashrrev_i32_e32 v2, 31, v2
	v_and_b32_e32 v4, exec_lo, v4
	v_xor_b32_e32 v38, vcc_hi, v2
	v_xor_b32_e32 v2, vcc_lo, v2
	v_and_b32_e32 v4, v4, v2
	v_lshlrev_b32_e32 v2, 29, v3
	v_cmp_gt_i64_e32 vcc, 0, v[1:2]
	v_not_b32_e32 v2, v2
	v_ashrrev_i32_e32 v2, 31, v2
	v_and_b32_e32 v37, v37, v38
	v_xor_b32_e32 v38, vcc_hi, v2
	v_xor_b32_e32 v2, vcc_lo, v2
	v_and_b32_e32 v4, v4, v2
	v_lshlrev_b32_e32 v2, 28, v3
	v_cmp_gt_i64_e32 vcc, 0, v[1:2]
	v_not_b32_e32 v2, v2
	v_ashrrev_i32_e32 v2, 31, v2
	v_and_b32_e32 v37, v37, v38
	;; [unrolled: 8-line block ×5, first 2 shown]
	v_xor_b32_e32 v38, vcc_hi, v2
	v_xor_b32_e32 v2, vcc_lo, v2
	v_and_b32_e32 v4, v4, v2
	v_lshlrev_b32_e32 v2, 24, v3
	v_cmp_gt_i64_e32 vcc, 0, v[1:2]
	v_not_b32_e32 v1, v2
	v_ashrrev_i32_e32 v1, 31, v1
	v_mad_u32_u24 v35, v3, 20, v20
	v_xor_b32_e32 v2, vcc_hi, v1
	v_xor_b32_e32 v1, vcc_lo, v1
	; wave barrier
	ds_read_b32 v33, v35 offset:16
	v_and_b32_e32 v37, v37, v38
	v_and_b32_e32 v1, v4, v1
	;; [unrolled: 1-line block ×3, first 2 shown]
	v_mbcnt_lo_u32_b32 v3, v1, 0
	v_mbcnt_hi_u32_b32 v37, v2, v3
	v_cmp_ne_u64_e32 vcc, 0, v[1:2]
	v_cmp_eq_u32_e64 s[0:1], 0, v37
	s_and_b64 s[2:3], vcc, s[0:1]
	; wave barrier
	s_and_saveexec_b64 s[0:1], s[2:3]
	s_cbranch_execz .LBB14_165
; %bb.164:
	v_bcnt_u32_b32 v1, v1, 0
	v_bcnt_u32_b32 v1, v2, v1
	s_waitcnt lgkmcnt(0)
	v_add_u32_e32 v1, v33, v1
	ds_write_b32 v35, v1 offset:16
.LBB14_165:
	s_or_b64 exec, exec, s[0:1]
	v_xor_b32_e32 v36, -1, v36
	v_lshrrev_b32_sdwa v1, s68, v36 dst_sel:DWORD dst_unused:UNUSED_PAD src0_sel:DWORD src1_sel:WORD_0
	v_and_b32_e32 v3, s9, v1
	v_and_b32_e32 v2, 1, v3
	v_add_co_u32_e32 v4, vcc, -1, v2
	v_addc_co_u32_e64 v41, s[0:1], 0, -1, vcc
	v_cmp_ne_u32_e32 vcc, 0, v2
	v_xor_b32_e32 v2, vcc_hi, v41
	v_mov_b32_e32 v1, 0
	v_and_b32_e32 v41, exec_hi, v2
	v_lshlrev_b32_e32 v2, 30, v3
	v_xor_b32_e32 v4, vcc_lo, v4
	v_cmp_gt_i64_e32 vcc, 0, v[1:2]
	v_not_b32_e32 v2, v2
	v_ashrrev_i32_e32 v2, 31, v2
	v_and_b32_e32 v4, exec_lo, v4
	v_xor_b32_e32 v42, vcc_hi, v2
	v_xor_b32_e32 v2, vcc_lo, v2
	v_and_b32_e32 v4, v4, v2
	v_lshlrev_b32_e32 v2, 29, v3
	v_cmp_gt_i64_e32 vcc, 0, v[1:2]
	v_not_b32_e32 v2, v2
	v_ashrrev_i32_e32 v2, 31, v2
	v_and_b32_e32 v41, v41, v42
	v_xor_b32_e32 v42, vcc_hi, v2
	v_xor_b32_e32 v2, vcc_lo, v2
	v_and_b32_e32 v4, v4, v2
	v_lshlrev_b32_e32 v2, 28, v3
	v_cmp_gt_i64_e32 vcc, 0, v[1:2]
	v_not_b32_e32 v2, v2
	v_ashrrev_i32_e32 v2, 31, v2
	v_and_b32_e32 v41, v41, v42
	;; [unrolled: 8-line block ×5, first 2 shown]
	v_xor_b32_e32 v42, vcc_hi, v2
	v_xor_b32_e32 v2, vcc_lo, v2
	v_and_b32_e32 v4, v4, v2
	v_lshlrev_b32_e32 v2, 24, v3
	v_cmp_gt_i64_e32 vcc, 0, v[1:2]
	v_not_b32_e32 v2, v2
	v_ashrrev_i32_e32 v2, 31, v2
	v_mad_u32_u24 v40, v3, 20, v20
	v_xor_b32_e32 v3, vcc_hi, v2
	v_xor_b32_e32 v2, vcc_lo, v2
	; wave barrier
	ds_read_b32 v38, v40 offset:16
	v_and_b32_e32 v41, v41, v42
	v_and_b32_e32 v2, v4, v2
	;; [unrolled: 1-line block ×3, first 2 shown]
	v_mbcnt_lo_u32_b32 v4, v2, 0
	v_mbcnt_hi_u32_b32 v41, v3, v4
	v_cmp_ne_u64_e32 vcc, 0, v[2:3]
	v_cmp_eq_u32_e64 s[0:1], 0, v41
	s_and_b64 s[2:3], vcc, s[0:1]
	; wave barrier
	s_and_saveexec_b64 s[0:1], s[2:3]
	s_cbranch_execz .LBB14_167
; %bb.166:
	v_bcnt_u32_b32 v2, v2, 0
	v_bcnt_u32_b32 v2, v3, v2
	s_waitcnt lgkmcnt(0)
	v_add_u32_e32 v2, v38, v2
	ds_write_b32 v40, v2 offset:16
.LBB14_167:
	s_or_b64 exec, exec, s[0:1]
	v_xor_b32_e32 v39, -1, v39
	v_lshrrev_b32_sdwa v2, s68, v39 dst_sel:DWORD dst_unused:UNUSED_PAD src0_sel:DWORD src1_sel:WORD_0
	v_and_b32_e32 v3, s9, v2
	v_and_b32_e32 v2, 1, v3
	v_add_co_u32_e32 v4, vcc, -1, v2
	v_addc_co_u32_e64 v44, s[0:1], 0, -1, vcc
	v_cmp_ne_u32_e32 vcc, 0, v2
	v_xor_b32_e32 v2, vcc_hi, v44
	v_and_b32_e32 v44, exec_hi, v2
	v_lshlrev_b32_e32 v2, 30, v3
	v_xor_b32_e32 v4, vcc_lo, v4
	v_cmp_gt_i64_e32 vcc, 0, v[1:2]
	v_not_b32_e32 v2, v2
	v_ashrrev_i32_e32 v2, 31, v2
	v_and_b32_e32 v4, exec_lo, v4
	v_xor_b32_e32 v45, vcc_hi, v2
	v_xor_b32_e32 v2, vcc_lo, v2
	v_and_b32_e32 v4, v4, v2
	v_lshlrev_b32_e32 v2, 29, v3
	v_cmp_gt_i64_e32 vcc, 0, v[1:2]
	v_not_b32_e32 v2, v2
	v_ashrrev_i32_e32 v2, 31, v2
	v_and_b32_e32 v44, v44, v45
	v_xor_b32_e32 v45, vcc_hi, v2
	v_xor_b32_e32 v2, vcc_lo, v2
	v_and_b32_e32 v4, v4, v2
	v_lshlrev_b32_e32 v2, 28, v3
	v_cmp_gt_i64_e32 vcc, 0, v[1:2]
	v_not_b32_e32 v2, v2
	v_ashrrev_i32_e32 v2, 31, v2
	v_and_b32_e32 v44, v44, v45
	;; [unrolled: 8-line block ×5, first 2 shown]
	v_xor_b32_e32 v45, vcc_hi, v2
	v_xor_b32_e32 v2, vcc_lo, v2
	v_and_b32_e32 v4, v4, v2
	v_lshlrev_b32_e32 v2, 24, v3
	v_cmp_gt_i64_e32 vcc, 0, v[1:2]
	v_not_b32_e32 v1, v2
	v_ashrrev_i32_e32 v1, 31, v1
	v_mad_u32_u24 v43, v3, 20, v20
	v_xor_b32_e32 v2, vcc_hi, v1
	v_xor_b32_e32 v1, vcc_lo, v1
	; wave barrier
	ds_read_b32 v42, v43 offset:16
	v_and_b32_e32 v44, v44, v45
	v_and_b32_e32 v1, v4, v1
	;; [unrolled: 1-line block ×3, first 2 shown]
	v_mbcnt_lo_u32_b32 v3, v1, 0
	v_mbcnt_hi_u32_b32 v44, v2, v3
	v_cmp_ne_u64_e32 vcc, 0, v[1:2]
	v_cmp_eq_u32_e64 s[0:1], 0, v44
	s_and_b64 s[2:3], vcc, s[0:1]
	; wave barrier
	s_and_saveexec_b64 s[0:1], s[2:3]
	s_cbranch_execz .LBB14_169
; %bb.168:
	v_bcnt_u32_b32 v1, v1, 0
	v_bcnt_u32_b32 v1, v2, v1
	s_waitcnt lgkmcnt(0)
	v_add_u32_e32 v1, v42, v1
	ds_write_b32 v43, v1 offset:16
.LBB14_169:
	s_or_b64 exec, exec, s[0:1]
	v_xor_b32_e32 v34, -1, v34
	v_lshrrev_b32_sdwa v1, s68, v34 dst_sel:DWORD dst_unused:UNUSED_PAD src0_sel:DWORD src1_sel:WORD_0
	v_and_b32_e32 v3, s9, v1
	v_and_b32_e32 v2, 1, v3
	v_add_co_u32_e32 v4, vcc, -1, v2
	v_addc_co_u32_e64 v47, s[0:1], 0, -1, vcc
	v_cmp_ne_u32_e32 vcc, 0, v2
	v_xor_b32_e32 v2, vcc_hi, v47
	v_mov_b32_e32 v1, 0
	v_and_b32_e32 v47, exec_hi, v2
	v_lshlrev_b32_e32 v2, 30, v3
	v_xor_b32_e32 v4, vcc_lo, v4
	v_cmp_gt_i64_e32 vcc, 0, v[1:2]
	v_not_b32_e32 v2, v2
	v_ashrrev_i32_e32 v2, 31, v2
	v_and_b32_e32 v4, exec_lo, v4
	v_xor_b32_e32 v48, vcc_hi, v2
	v_xor_b32_e32 v2, vcc_lo, v2
	v_and_b32_e32 v4, v4, v2
	v_lshlrev_b32_e32 v2, 29, v3
	v_cmp_gt_i64_e32 vcc, 0, v[1:2]
	v_not_b32_e32 v2, v2
	v_ashrrev_i32_e32 v2, 31, v2
	v_and_b32_e32 v47, v47, v48
	v_xor_b32_e32 v48, vcc_hi, v2
	v_xor_b32_e32 v2, vcc_lo, v2
	v_and_b32_e32 v4, v4, v2
	v_lshlrev_b32_e32 v2, 28, v3
	v_cmp_gt_i64_e32 vcc, 0, v[1:2]
	v_not_b32_e32 v2, v2
	v_ashrrev_i32_e32 v2, 31, v2
	v_and_b32_e32 v47, v47, v48
	;; [unrolled: 8-line block ×5, first 2 shown]
	v_xor_b32_e32 v48, vcc_hi, v2
	v_xor_b32_e32 v2, vcc_lo, v2
	v_and_b32_e32 v4, v4, v2
	v_lshlrev_b32_e32 v2, 24, v3
	v_cmp_gt_i64_e32 vcc, 0, v[1:2]
	v_not_b32_e32 v2, v2
	v_ashrrev_i32_e32 v2, 31, v2
	v_mad_u32_u24 v46, v3, 20, v20
	v_xor_b32_e32 v3, vcc_hi, v2
	v_xor_b32_e32 v2, vcc_lo, v2
	; wave barrier
	ds_read_b32 v45, v46 offset:16
	v_and_b32_e32 v47, v47, v48
	v_and_b32_e32 v2, v4, v2
	;; [unrolled: 1-line block ×3, first 2 shown]
	v_mbcnt_lo_u32_b32 v4, v2, 0
	v_mbcnt_hi_u32_b32 v48, v3, v4
	v_cmp_ne_u64_e32 vcc, 0, v[2:3]
	v_cmp_eq_u32_e64 s[0:1], 0, v48
	s_and_b64 s[2:3], vcc, s[0:1]
	; wave barrier
	s_and_saveexec_b64 s[0:1], s[2:3]
	s_cbranch_execz .LBB14_171
; %bb.170:
	v_bcnt_u32_b32 v2, v2, 0
	v_bcnt_u32_b32 v2, v3, v2
	s_waitcnt lgkmcnt(0)
	v_add_u32_e32 v2, v45, v2
	ds_write_b32 v46, v2 offset:16
.LBB14_171:
	s_or_b64 exec, exec, s[0:1]
	v_xor_b32_e32 v47, -1, v29
	v_lshrrev_b32_sdwa v2, s68, v47 dst_sel:DWORD dst_unused:UNUSED_PAD src0_sel:DWORD src1_sel:WORD_0
	v_and_b32_e32 v3, s9, v2
	v_and_b32_e32 v2, 1, v3
	v_add_co_u32_e32 v4, vcc, -1, v2
	v_addc_co_u32_e64 v50, s[0:1], 0, -1, vcc
	v_cmp_ne_u32_e32 vcc, 0, v2
	v_xor_b32_e32 v2, vcc_hi, v50
	v_and_b32_e32 v50, exec_hi, v2
	v_lshlrev_b32_e32 v2, 30, v3
	v_xor_b32_e32 v4, vcc_lo, v4
	v_cmp_gt_i64_e32 vcc, 0, v[1:2]
	v_not_b32_e32 v2, v2
	v_ashrrev_i32_e32 v2, 31, v2
	v_and_b32_e32 v4, exec_lo, v4
	v_xor_b32_e32 v51, vcc_hi, v2
	v_xor_b32_e32 v2, vcc_lo, v2
	v_and_b32_e32 v4, v4, v2
	v_lshlrev_b32_e32 v2, 29, v3
	v_cmp_gt_i64_e32 vcc, 0, v[1:2]
	v_not_b32_e32 v2, v2
	v_ashrrev_i32_e32 v2, 31, v2
	v_and_b32_e32 v50, v50, v51
	v_xor_b32_e32 v51, vcc_hi, v2
	v_xor_b32_e32 v2, vcc_lo, v2
	v_and_b32_e32 v4, v4, v2
	v_lshlrev_b32_e32 v2, 28, v3
	v_cmp_gt_i64_e32 vcc, 0, v[1:2]
	v_not_b32_e32 v2, v2
	v_ashrrev_i32_e32 v2, 31, v2
	v_and_b32_e32 v50, v50, v51
	;; [unrolled: 8-line block ×5, first 2 shown]
	v_xor_b32_e32 v51, vcc_hi, v2
	v_xor_b32_e32 v2, vcc_lo, v2
	v_and_b32_e32 v4, v4, v2
	v_lshlrev_b32_e32 v2, 24, v3
	v_cmp_gt_i64_e32 vcc, 0, v[1:2]
	v_not_b32_e32 v1, v2
	v_ashrrev_i32_e32 v1, 31, v1
	v_mad_u32_u24 v29, v3, 20, v20
	v_xor_b32_e32 v2, vcc_hi, v1
	v_xor_b32_e32 v1, vcc_lo, v1
	; wave barrier
	ds_read_b32 v49, v29 offset:16
	v_and_b32_e32 v50, v50, v51
	v_and_b32_e32 v1, v4, v1
	;; [unrolled: 1-line block ×3, first 2 shown]
	v_mbcnt_lo_u32_b32 v3, v1, 0
	v_mbcnt_hi_u32_b32 v51, v2, v3
	v_cmp_ne_u64_e32 vcc, 0, v[1:2]
	v_cmp_eq_u32_e64 s[0:1], 0, v51
	s_and_b64 s[2:3], vcc, s[0:1]
	; wave barrier
	s_and_saveexec_b64 s[0:1], s[2:3]
	s_cbranch_execz .LBB14_173
; %bb.172:
	v_bcnt_u32_b32 v1, v1, 0
	v_bcnt_u32_b32 v1, v2, v1
	s_waitcnt lgkmcnt(0)
	v_add_u32_e32 v1, v49, v1
	ds_write_b32 v29, v1 offset:16
.LBB14_173:
	s_or_b64 exec, exec, s[0:1]
	v_xor_b32_e32 v50, -1, v24
	v_lshrrev_b32_sdwa v1, s68, v50 dst_sel:DWORD dst_unused:UNUSED_PAD src0_sel:DWORD src1_sel:WORD_0
	v_and_b32_e32 v3, s9, v1
	v_and_b32_e32 v2, 1, v3
	v_add_co_u32_e32 v4, vcc, -1, v2
	v_addc_co_u32_e64 v53, s[0:1], 0, -1, vcc
	v_cmp_ne_u32_e32 vcc, 0, v2
	v_xor_b32_e32 v2, vcc_hi, v53
	v_mov_b32_e32 v1, 0
	v_and_b32_e32 v53, exec_hi, v2
	v_lshlrev_b32_e32 v2, 30, v3
	v_xor_b32_e32 v4, vcc_lo, v4
	v_cmp_gt_i64_e32 vcc, 0, v[1:2]
	v_not_b32_e32 v2, v2
	v_ashrrev_i32_e32 v2, 31, v2
	v_and_b32_e32 v4, exec_lo, v4
	v_xor_b32_e32 v54, vcc_hi, v2
	v_xor_b32_e32 v2, vcc_lo, v2
	v_and_b32_e32 v4, v4, v2
	v_lshlrev_b32_e32 v2, 29, v3
	v_cmp_gt_i64_e32 vcc, 0, v[1:2]
	v_not_b32_e32 v2, v2
	v_ashrrev_i32_e32 v2, 31, v2
	v_and_b32_e32 v53, v53, v54
	v_xor_b32_e32 v54, vcc_hi, v2
	v_xor_b32_e32 v2, vcc_lo, v2
	v_and_b32_e32 v4, v4, v2
	v_lshlrev_b32_e32 v2, 28, v3
	v_cmp_gt_i64_e32 vcc, 0, v[1:2]
	v_not_b32_e32 v2, v2
	v_ashrrev_i32_e32 v2, 31, v2
	v_and_b32_e32 v53, v53, v54
	;; [unrolled: 8-line block ×5, first 2 shown]
	v_xor_b32_e32 v54, vcc_hi, v2
	v_xor_b32_e32 v2, vcc_lo, v2
	v_and_b32_e32 v4, v4, v2
	v_lshlrev_b32_e32 v2, 24, v3
	v_cmp_gt_i64_e32 vcc, 0, v[1:2]
	v_not_b32_e32 v2, v2
	v_ashrrev_i32_e32 v2, 31, v2
	v_mad_u32_u24 v24, v3, 20, v20
	v_xor_b32_e32 v3, vcc_hi, v2
	v_xor_b32_e32 v2, vcc_lo, v2
	; wave barrier
	ds_read_b32 v52, v24 offset:16
	v_and_b32_e32 v53, v53, v54
	v_and_b32_e32 v2, v4, v2
	;; [unrolled: 1-line block ×3, first 2 shown]
	v_mbcnt_lo_u32_b32 v4, v2, 0
	v_mbcnt_hi_u32_b32 v54, v3, v4
	v_cmp_ne_u64_e32 vcc, 0, v[2:3]
	v_cmp_eq_u32_e64 s[0:1], 0, v54
	s_and_b64 s[2:3], vcc, s[0:1]
	; wave barrier
	s_and_saveexec_b64 s[0:1], s[2:3]
	s_cbranch_execz .LBB14_175
; %bb.174:
	v_bcnt_u32_b32 v2, v2, 0
	v_bcnt_u32_b32 v2, v3, v2
	s_waitcnt lgkmcnt(0)
	v_add_u32_e32 v2, v52, v2
	ds_write_b32 v24, v2 offset:16
.LBB14_175:
	s_or_b64 exec, exec, s[0:1]
	v_xor_b32_e32 v53, -1, v18
	v_lshrrev_b32_sdwa v2, s68, v53 dst_sel:DWORD dst_unused:UNUSED_PAD src0_sel:DWORD src1_sel:WORD_0
	v_and_b32_e32 v3, s9, v2
	v_and_b32_e32 v2, 1, v3
	v_add_co_u32_e32 v4, vcc, -1, v2
	v_mad_u32_u24 v18, v3, 20, v20
	v_addc_co_u32_e64 v20, s[0:1], 0, -1, vcc
	v_cmp_ne_u32_e32 vcc, 0, v2
	v_xor_b32_e32 v2, vcc_hi, v20
	v_and_b32_e32 v20, exec_hi, v2
	v_lshlrev_b32_e32 v2, 30, v3
	v_xor_b32_e32 v4, vcc_lo, v4
	v_cmp_gt_i64_e32 vcc, 0, v[1:2]
	v_not_b32_e32 v2, v2
	v_ashrrev_i32_e32 v2, 31, v2
	v_and_b32_e32 v4, exec_lo, v4
	v_xor_b32_e32 v56, vcc_hi, v2
	v_xor_b32_e32 v2, vcc_lo, v2
	v_and_b32_e32 v4, v4, v2
	v_lshlrev_b32_e32 v2, 29, v3
	v_cmp_gt_i64_e32 vcc, 0, v[1:2]
	v_not_b32_e32 v2, v2
	v_ashrrev_i32_e32 v2, 31, v2
	v_and_b32_e32 v20, v20, v56
	v_xor_b32_e32 v56, vcc_hi, v2
	v_xor_b32_e32 v2, vcc_lo, v2
	v_and_b32_e32 v4, v4, v2
	v_lshlrev_b32_e32 v2, 28, v3
	v_cmp_gt_i64_e32 vcc, 0, v[1:2]
	v_not_b32_e32 v2, v2
	v_ashrrev_i32_e32 v2, 31, v2
	v_and_b32_e32 v20, v20, v56
	;; [unrolled: 8-line block ×5, first 2 shown]
	v_xor_b32_e32 v56, vcc_hi, v2
	v_xor_b32_e32 v2, vcc_lo, v2
	v_and_b32_e32 v4, v4, v2
	v_lshlrev_b32_e32 v2, 24, v3
	v_cmp_gt_i64_e32 vcc, 0, v[1:2]
	v_not_b32_e32 v1, v2
	v_ashrrev_i32_e32 v1, 31, v1
	v_xor_b32_e32 v2, vcc_hi, v1
	v_xor_b32_e32 v1, vcc_lo, v1
	; wave barrier
	ds_read_b32 v55, v18 offset:16
	v_and_b32_e32 v20, v20, v56
	v_and_b32_e32 v1, v4, v1
	;; [unrolled: 1-line block ×3, first 2 shown]
	v_mbcnt_lo_u32_b32 v3, v1, 0
	v_mbcnt_hi_u32_b32 v56, v2, v3
	v_cmp_ne_u64_e32 vcc, 0, v[1:2]
	v_cmp_eq_u32_e64 s[0:1], 0, v56
	s_and_b64 s[2:3], vcc, s[0:1]
	; wave barrier
	s_and_saveexec_b64 s[0:1], s[2:3]
	s_cbranch_execz .LBB14_177
; %bb.176:
	v_bcnt_u32_b32 v1, v1, 0
	v_bcnt_u32_b32 v1, v2, v1
	s_waitcnt lgkmcnt(0)
	v_add_u32_e32 v1, v55, v1
	ds_write_b32 v18, v1 offset:16
.LBB14_177:
	s_or_b64 exec, exec, s[0:1]
	; wave barrier
	s_waitcnt lgkmcnt(0)
	s_barrier
	ds_read2_b32 v[3:4], v6 offset0:4 offset1:5
	ds_read2_b32 v[1:2], v6 offset0:6 offset1:7
	ds_read_b32 v20, v6 offset:32
	v_min_u32_e32 v9, 0xc0, v9
	v_or_b32_e32 v9, 63, v9
	s_waitcnt lgkmcnt(1)
	v_add3_u32 v57, v4, v3, v1
	s_waitcnt lgkmcnt(0)
	v_add3_u32 v20, v57, v2, v20
	v_and_b32_e32 v57, 15, v8
	v_cmp_ne_u32_e32 vcc, 0, v57
	v_mov_b32_dpp v58, v20 row_shr:1 row_mask:0xf bank_mask:0xf
	v_cndmask_b32_e32 v58, 0, v58, vcc
	v_add_u32_e32 v20, v58, v20
	v_cmp_lt_u32_e32 vcc, 1, v57
	s_nop 0
	v_mov_b32_dpp v58, v20 row_shr:2 row_mask:0xf bank_mask:0xf
	v_cndmask_b32_e32 v58, 0, v58, vcc
	v_add_u32_e32 v20, v20, v58
	v_cmp_lt_u32_e32 vcc, 3, v57
	s_nop 0
	;; [unrolled: 5-line block ×3, first 2 shown]
	v_mov_b32_dpp v58, v20 row_shr:8 row_mask:0xf bank_mask:0xf
	v_cndmask_b32_e32 v57, 0, v58, vcc
	v_add_u32_e32 v20, v20, v57
	v_bfe_i32 v58, v8, 4, 1
	v_cmp_lt_u32_e32 vcc, 31, v8
	v_mov_b32_dpp v57, v20 row_bcast:15 row_mask:0xf bank_mask:0xf
	v_and_b32_e32 v57, v58, v57
	v_add_u32_e32 v20, v20, v57
	s_nop 1
	v_mov_b32_dpp v57, v20 row_bcast:31 row_mask:0xf bank_mask:0xf
	v_cndmask_b32_e32 v57, 0, v57, vcc
	v_add_u32_e32 v20, v20, v57
	v_lshrrev_b32_e32 v57, 6, v0
	v_cmp_eq_u32_e32 vcc, v0, v9
	s_and_saveexec_b64 s[0:1], vcc
; %bb.178:
	v_lshlrev_b32_e32 v9, 2, v57
	ds_write_b32 v9, v20
; %bb.179:
	s_or_b64 exec, exec, s[0:1]
	v_cmp_gt_u32_e32 vcc, 4, v0
	s_waitcnt lgkmcnt(0)
	s_barrier
	s_and_saveexec_b64 s[0:1], vcc
	s_cbranch_execz .LBB14_181
; %bb.180:
	v_lshlrev_b32_e32 v9, 2, v0
	ds_read_b32 v58, v9
	v_and_b32_e32 v59, 3, v8
	v_cmp_ne_u32_e32 vcc, 0, v59
	s_waitcnt lgkmcnt(0)
	v_mov_b32_dpp v60, v58 row_shr:1 row_mask:0xf bank_mask:0xf
	v_cndmask_b32_e32 v60, 0, v60, vcc
	v_add_u32_e32 v58, v60, v58
	v_cmp_lt_u32_e32 vcc, 1, v59
	s_nop 0
	v_mov_b32_dpp v60, v58 row_shr:2 row_mask:0xf bank_mask:0xf
	v_cndmask_b32_e32 v59, 0, v60, vcc
	v_add_u32_e32 v58, v58, v59
	ds_write_b32 v9, v58
.LBB14_181:
	s_or_b64 exec, exec, s[0:1]
	v_cmp_lt_u32_e32 vcc, 63, v0
	v_mov_b32_e32 v9, 0
	s_waitcnt lgkmcnt(0)
	s_barrier
	s_and_saveexec_b64 s[0:1], vcc
; %bb.182:
	v_lshl_add_u32 v9, v57, 2, -4
	ds_read_b32 v9, v9
; %bb.183:
	s_or_b64 exec, exec, s[0:1]
	v_add_u32_e32 v57, -1, v8
	v_and_b32_e32 v58, 64, v8
	v_cmp_lt_i32_e32 vcc, v57, v58
	v_cndmask_b32_e32 v57, v57, v8, vcc
	s_waitcnt lgkmcnt(0)
	v_add_u32_e32 v20, v9, v20
	v_lshlrev_b32_e32 v57, 2, v57
	ds_bpermute_b32 v20, v57, v20
	v_cmp_eq_u32_e32 vcc, 0, v8
	s_movk_i32 s0, 0x100
	s_waitcnt lgkmcnt(0)
	v_cndmask_b32_e32 v9, v20, v9, vcc
	v_cmp_ne_u32_e32 vcc, 0, v0
	v_cndmask_b32_e32 v9, 0, v9, vcc
	v_add_u32_e32 v3, v9, v3
	v_add_u32_e32 v4, v3, v4
	;; [unrolled: 1-line block ×4, first 2 shown]
	ds_write2_b32 v6, v9, v3 offset0:4 offset1:5
	ds_write2_b32 v6, v4, v1 offset0:6 offset1:7
	ds_write_b32 v6, v2 offset:32
	s_waitcnt lgkmcnt(0)
	s_barrier
	ds_read_b32 v2, v43 offset:16
	ds_read_b32 v3, v46 offset:16
	;; [unrolled: 1-line block ×13, first 2 shown]
	v_add_u32_e32 v6, 1, v0
	v_cmp_ne_u32_e32 vcc, s0, v6
	v_mov_b32_e32 v1, 0xc00
	s_and_saveexec_b64 s[0:1], vcc
; %bb.184:
	v_mul_u32_u24_e32 v1, 20, v6
	ds_read_b32 v1, v1 offset:16
; %bb.185:
	s_or_b64 exec, exec, s[0:1]
	s_waitcnt lgkmcnt(7)
	v_add_u32_e32 v29, v10, v12
	s_waitcnt lgkmcnt(6)
	v_add3_u32 v25, v16, v13, v14
	s_waitcnt lgkmcnt(5)
	v_add3_u32 v24, v22, v17, v18
	v_add3_u32 v17, v44, v42, v2
	v_lshlrev_b32_e32 v2, 1, v29
	s_waitcnt lgkmcnt(0)
	s_barrier
	ds_write_b16 v2, v5 offset:2048
	v_lshlrev_b32_e32 v2, 1, v25
	v_add3_u32 v22, v27, v23, v19
	ds_write_b16 v2, v11 offset:2048
	v_lshlrev_b32_e32 v2, 1, v24
	v_add3_u32 v20, v32, v28, v20
	;; [unrolled: 3-line block ×4, first 2 shown]
	ds_write_b16 v2, v26 offset:2048
	v_lshlrev_b32_e32 v2, 1, v19
	ds_write_b16 v2, v31 offset:2048
	v_lshlrev_b32_e32 v2, 1, v18
	v_add3_u32 v16, v48, v45, v3
	ds_write_b16 v2, v36 offset:2048
	v_lshlrev_b32_e32 v2, 1, v17
	v_add3_u32 v14, v51, v49, v4
	;; [unrolled: 3-line block ×4, first 2 shown]
	ds_write_b16 v2, v47 offset:2048
	v_lshlrev_b32_e32 v2, 1, v13
	ds_write_b16 v2, v50 offset:2048
	v_lshlrev_b32_e32 v2, 1, v12
	ds_write_b16 v2, v53 offset:2048
	v_sub_u32_e32 v10, v1, v9
	v_lshl_or_b32 v1, s6, 8, v0
	v_mov_b32_e32 v2, 0
	v_lshlrev_b64 v[3:4], 2, v[1:2]
	v_mov_b32_e32 v11, s73
	v_add_co_u32_e32 v3, vcc, s72, v3
	v_addc_co_u32_e32 v4, vcc, v11, v4, vcc
	v_or_b32_e32 v1, 2.0, v10
	s_mov_b64 s[0:1], 0
	s_brev_b32 s10, -4
	v_mov_b32_e32 v15, 0
	s_waitcnt lgkmcnt(0)
	s_barrier
	global_store_dword v[3:4], v1, off
                                        ; implicit-def: $sgpr2_sgpr3
	s_branch .LBB14_188
.LBB14_186:                             ;   in Loop: Header=BB14_188 Depth=1
	s_or_b64 exec, exec, s[4:5]
.LBB14_187:                             ;   in Loop: Header=BB14_188 Depth=1
	s_or_b64 exec, exec, s[2:3]
	v_and_b32_e32 v5, 0x3fffffff, v1
	v_add_u32_e32 v15, v5, v15
	v_cmp_gt_i32_e64 s[2:3], -2.0, v1
	s_and_b64 s[4:5], exec, s[2:3]
	s_or_b64 s[0:1], s[4:5], s[0:1]
	s_andn2_b64 exec, exec, s[0:1]
	s_cbranch_execz .LBB14_193
.LBB14_188:                             ; =>This Loop Header: Depth=1
                                        ;     Child Loop BB14_191 Depth 2
	s_or_b64 s[2:3], s[2:3], exec
	s_cmp_eq_u32 s7, 0
	s_cbranch_scc1 .LBB14_192
; %bb.189:                              ;   in Loop: Header=BB14_188 Depth=1
	s_add_i32 s7, s7, -1
	v_lshl_or_b32 v1, s7, 8, v0
	v_lshlrev_b64 v[5:6], 2, v[1:2]
	v_add_co_u32_e32 v5, vcc, s72, v5
	v_addc_co_u32_e32 v6, vcc, v11, v6, vcc
	global_load_dword v1, v[5:6], off glc
	s_waitcnt vmcnt(0)
	v_cmp_gt_u32_e32 vcc, 2.0, v1
	s_and_saveexec_b64 s[2:3], vcc
	s_cbranch_execz .LBB14_187
; %bb.190:                              ;   in Loop: Header=BB14_188 Depth=1
	s_mov_b64 s[4:5], 0
.LBB14_191:                             ;   Parent Loop BB14_188 Depth=1
                                        ; =>  This Inner Loop Header: Depth=2
	global_load_dword v1, v[5:6], off glc
	s_waitcnt vmcnt(0)
	v_cmp_lt_u32_e32 vcc, s10, v1
	s_or_b64 s[4:5], vcc, s[4:5]
	s_andn2_b64 exec, exec, s[4:5]
	s_cbranch_execnz .LBB14_191
	s_branch .LBB14_186
.LBB14_192:                             ;   in Loop: Header=BB14_188 Depth=1
                                        ; implicit-def: $sgpr7
	s_and_b64 s[4:5], exec, s[2:3]
	s_or_b64 s[0:1], s[4:5], s[0:1]
	s_andn2_b64 exec, exec, s[0:1]
	s_cbranch_execnz .LBB14_188
.LBB14_193:
	s_or_b64 exec, exec, s[0:1]
	v_add_u32_e32 v2, v15, v10
	v_or_b32_e32 v2, 0x80000000, v2
	v_lshlrev_b32_e32 v1, 3, v0
	global_store_dword v[3:4], v2, off
	global_load_dwordx2 v[2:3], v1, s[64:65]
	v_sub_co_u32_e32 v4, vcc, v15, v9
	v_subb_co_u32_e64 v5, s[0:1], 0, 0, vcc
	v_mad_i32_i24 v52, v0, -6, v1
	v_mov_b32_e32 v6, s59
	v_mov_b32_e32 v15, s59
	;; [unrolled: 1-line block ×4, first 2 shown]
	v_lshlrev_b32_e32 v11, 1, v0
	v_mov_b32_e32 v28, s59
	s_lshl_b64 s[0:1], s[54:55], 3
	s_add_u32 s0, s60, s0
	s_addc_u32 s1, s61, s1
	v_or_b32_e32 v61, 0x800, v0
	v_or_b32_e32 v65, 0xa00, v0
	s_add_i32 s8, s8, -1
	s_cmp_lg_u32 s6, s8
	s_waitcnt vmcnt(0)
	v_add_co_u32_e32 v2, vcc, v4, v2
	v_addc_co_u32_e32 v3, vcc, v5, v3, vcc
	ds_write_b64 v1, v[2:3]
	s_waitcnt lgkmcnt(0)
	s_barrier
	ds_read_u16 v2, v52 offset:2048
	ds_read_u16 v3, v52 offset:2560
	;; [unrolled: 1-line block ×8, first 2 shown]
	s_waitcnt lgkmcnt(7)
	v_lshrrev_b32_sdwa v27, s68, v2 dst_sel:DWORD dst_unused:UNUSED_PAD src0_sel:DWORD src1_sel:WORD_0
	v_xor_b32_e32 v37, -1, v2
	s_waitcnt lgkmcnt(6)
	v_lshrrev_b32_sdwa v2, s68, v3 dst_sel:DWORD dst_unused:UNUSED_PAD src0_sel:DWORD src1_sel:WORD_0
	v_xor_b32_e32 v38, -1, v3
	;; [unrolled: 3-line block ×4, first 2 shown]
	s_waitcnt lgkmcnt(3)
	v_lshrrev_b32_sdwa v5, s68, v26 dst_sel:DWORD dst_unused:UNUSED_PAD src0_sel:DWORD src1_sel:WORD_0
	v_and_b32_e32 v2, s9, v2
	v_xor_b32_e32 v41, -1, v26
	v_and_b32_e32 v26, s9, v27
	v_and_b32_e32 v3, s9, v3
	;; [unrolled: 1-line block ×4, first 2 shown]
	v_lshlrev_b32_e32 v54, 3, v2
	v_lshlrev_b32_e32 v53, 3, v26
	;; [unrolled: 1-line block ×5, first 2 shown]
	ds_read_b64 v[2:3], v54
	ds_read_b64 v[4:5], v55
	;; [unrolled: 1-line block ×5, first 2 shown]
	ds_read_u16 v42, v52 offset:6144
	ds_read_u16 v46, v52 offset:6656
	;; [unrolled: 1-line block ×4, first 2 shown]
	s_waitcnt lgkmcnt(4)
	v_lshlrev_b64 v[32:33], 1, v[32:33]
	v_lshlrev_b64 v[2:3], 1, v[2:3]
	v_add_co_u32_e32 v32, vcc, s58, v32
	v_addc_co_u32_e32 v6, vcc, v6, v33, vcc
	v_lshlrev_b64 v[4:5], 1, v[4:5]
	v_add_co_u32_e32 v33, vcc, s58, v2
	v_addc_co_u32_e32 v15, vcc, v15, v3, vcc
	;; [unrolled: 3-line block ×3, first 2 shown]
	v_add_co_u32_e32 v44, vcc, s58, v26
	v_addc_co_u32_e32 v23, vcc, v23, v27, vcc
	v_add_co_u32_e32 v2, vcc, v32, v11
	v_addc_co_u32_e32 v3, vcc, 0, v6, vcc
	;; [unrolled: 2-line block ×4, first 2 shown]
	v_lshlrev_b64 v[30:31], 1, v[30:31]
	v_add_co_u32_e32 v32, vcc, v44, v11
	v_addc_co_u32_e32 v33, vcc, 0, v23, vcc
	global_store_short v[2:3], v37, off
	global_store_short v[4:5], v38, off offset:512
	global_store_short v[26:27], v39, off offset:1024
	;; [unrolled: 1-line block ×3, first 2 shown]
	v_add_co_u32_e32 v2, vcc, s58, v30
	v_addc_co_u32_e32 v3, vcc, v28, v31, vcc
	v_add_co_u32_e32 v2, vcc, v2, v11
	v_addc_co_u32_e32 v3, vcc, 0, v3, vcc
	global_store_short v[2:3], v41, off offset:2048
	v_lshrrev_b32_sdwa v2, s68, v34 dst_sel:DWORD dst_unused:UNUSED_PAD src0_sel:DWORD src1_sel:WORD_0
	v_and_b32_e32 v2, s9, v2
	v_lshlrev_b32_e32 v21, 3, v2
	ds_read_b64 v[2:3], v21
	v_lshrrev_b32_sdwa v4, s68, v35 dst_sel:DWORD dst_unused:UNUSED_PAD src0_sel:DWORD src1_sel:WORD_0
	v_and_b32_e32 v4, s9, v4
	v_lshlrev_b32_e32 v23, 3, v4
	v_lshrrev_b32_sdwa v4, s68, v36 dst_sel:DWORD dst_unused:UNUSED_PAD src0_sel:DWORD src1_sel:WORD_0
	v_and_b32_e32 v4, s9, v4
	s_waitcnt lgkmcnt(0)
	v_lshlrev_b64 v[2:3], 1, v[2:3]
	v_lshlrev_b32_e32 v28, 3, v4
	v_lshrrev_b32_sdwa v4, s68, v42 dst_sel:DWORD dst_unused:UNUSED_PAD src0_sel:DWORD src1_sel:WORD_0
	v_and_b32_e32 v4, s9, v4
	v_mov_b32_e32 v15, s59
	v_add_co_u32_e32 v2, vcc, s58, v2
	v_lshlrev_b32_e32 v60, 3, v4
	ds_read_b64 v[4:5], v23
	ds_read_b64 v[26:27], v28
	;; [unrolled: 1-line block ×3, first 2 shown]
	v_addc_co_u32_e32 v3, vcc, v15, v3, vcc
	v_add_co_u32_e32 v2, vcc, v2, v11
	v_xor_b32_e32 v6, -1, v34
	v_addc_co_u32_e32 v3, vcc, 0, v3, vcc
	global_store_short v[2:3], v6, off offset:2560
	s_waitcnt lgkmcnt(2)
	v_lshlrev_b64 v[2:3], 1, v[4:5]
	v_mov_b32_e32 v4, s59
	v_add_co_u32_e32 v2, vcc, s58, v2
	v_addc_co_u32_e32 v3, vcc, v4, v3, vcc
	v_add_co_u32_e32 v2, vcc, v2, v11
	v_xor_b32_e32 v6, -1, v35
	v_addc_co_u32_e32 v3, vcc, 0, v3, vcc
	global_store_short v[2:3], v6, off offset:3072
	s_waitcnt lgkmcnt(1)
	v_lshlrev_b64 v[2:3], 1, v[26:27]
	v_mov_b32_e32 v5, s59
	v_add_co_u32_e32 v2, vcc, s58, v2
	;; [unrolled: 9-line block ×3, first 2 shown]
	v_addc_co_u32_e32 v43, vcc, v4, v3, vcc
	v_lshlrev_b32_e32 v2, 3, v8
	v_mov_b32_e32 v3, s1
	v_add_co_u32_e32 v2, vcc, s0, v2
	v_addc_co_u32_e32 v3, vcc, 0, v3, vcc
	v_lshlrev_b32_e32 v4, 3, v7
	v_add_co_u32_e32 v2, vcc, v2, v4
	v_addc_co_u32_e32 v3, vcc, 0, v3, vcc
	s_movk_i32 s0, 0x1000
	global_load_dwordx2 v[4:5], v[2:3], off
	global_load_dwordx2 v[6:7], v[2:3], off offset:512
	global_load_dwordx2 v[26:27], v[2:3], off offset:1024
	;; [unrolled: 1-line block ×7, first 2 shown]
	v_add_co_u32_e32 v2, vcc, s0, v2
	v_xor_b32_e32 v11, -1, v42
	v_lshlrev_b32_e32 v42, 1, v61
	v_addc_co_u32_e32 v3, vcc, 0, v3, vcc
	global_load_dwordx2 v[40:41], v[2:3], off
	global_load_dwordx2 v[44:45], v[2:3], off offset:512
	v_add_co_u32_e32 v42, vcc, v15, v42
	v_addc_co_u32_e32 v43, vcc, 0, v43, vcc
	global_store_short v[42:43], v11, off
	global_load_dwordx2 v[42:43], v[2:3], off offset:1024
	v_lshrrev_b32_sdwa v11, s68, v46 dst_sel:DWORD dst_unused:UNUSED_PAD src0_sel:DWORD src1_sel:WORD_0
	global_load_dwordx2 v[2:3], v[2:3], off offset:1536
	v_and_b32_e32 v11, s9, v11
	v_lshlrev_b32_e32 v62, 3, v11
	v_xor_b32_e32 v15, -1, v46
	ds_read_b64 v[46:47], v62
	v_lshrrev_b32_sdwa v11, s68, v58 dst_sel:DWORD dst_unused:UNUSED_PAD src0_sel:DWORD src1_sel:WORD_0
	v_and_b32_e32 v11, s9, v11
	v_lshlrev_b32_e32 v63, 3, v11
	v_lshrrev_b32_sdwa v11, s68, v59 dst_sel:DWORD dst_unused:UNUSED_PAD src0_sel:DWORD src1_sel:WORD_0
	s_waitcnt lgkmcnt(0)
	v_lshlrev_b64 v[46:47], 1, v[46:47]
	v_and_b32_e32 v11, s9, v11
	v_or_b32_e32 v8, 0x900, v0
	v_lshlrev_b32_e32 v64, 3, v11
	ds_read_b64 v[48:49], v63
	ds_read_b64 v[50:51], v64
	v_mov_b32_e32 v11, s59
	v_add_co_u32_e32 v46, vcc, s58, v46
	v_addc_co_u32_e32 v11, vcc, v11, v47, vcc
	v_lshlrev_b32_e32 v47, 1, v8
	v_add_co_u32_e32 v46, vcc, v46, v47
	v_addc_co_u32_e32 v47, vcc, 0, v11, vcc
	global_store_short v[46:47], v15, off
	s_waitcnt lgkmcnt(1)
	v_lshlrev_b64 v[46:47], 1, v[48:49]
	v_mov_b32_e32 v15, s59
	v_add_co_u32_e32 v46, vcc, s58, v46
	v_addc_co_u32_e32 v15, vcc, v15, v47, vcc
	v_lshlrev_b32_e32 v47, 1, v65
	v_add_co_u32_e32 v46, vcc, v46, v47
	v_xor_b32_e32 v11, -1, v58
	v_addc_co_u32_e32 v47, vcc, 0, v15, vcc
	global_store_short v[46:47], v11, off
	s_waitcnt lgkmcnt(0)
	v_lshlrev_b64 v[46:47], 1, v[50:51]
	v_or_b32_e32 v48, 0xb00, v0
	v_mov_b32_e32 v15, s59
	v_add_co_u32_e32 v46, vcc, s58, v46
	v_addc_co_u32_e32 v15, vcc, v15, v47, vcc
	v_lshlrev_b32_e32 v47, 1, v48
	v_add_co_u32_e32 v46, vcc, v46, v47
	v_xor_b32_e32 v11, -1, v59
	v_addc_co_u32_e32 v47, vcc, 0, v15, vcc
	global_store_short v[46:47], v11, off
	v_lshlrev_b32_e32 v11, 3, v29
	s_waitcnt vmcnt(0)
	s_barrier
	v_mad_u32_u24 v0, v0, 6, v52
	ds_write_b64 v11, v[4:5] offset:2048
	v_lshlrev_b32_e32 v4, 3, v25
	ds_write_b64 v4, v[6:7] offset:2048
	v_lshlrev_b32_e32 v4, 3, v24
	;; [unrolled: 2-line block ×10, first 2 shown]
	v_mov_b32_e32 v17, s63
	ds_write_b64 v4, v[42:43] offset:2048
	v_lshlrev_b32_e32 v4, 3, v12
	ds_write_b64 v4, v[2:3] offset:2048
	s_waitcnt lgkmcnt(0)
	s_barrier
	ds_read_b64 v[6:7], v53
	ds_read2st64_b64 v[2:5], v0 offset0:4 offset1:8
	ds_read_b64 v[11:12], v54
	ds_read_b64 v[13:14], v55
	;; [unrolled: 1-line block ×3, first 2 shown]
	s_waitcnt lgkmcnt(4)
	v_lshlrev_b64 v[6:7], 3, v[6:7]
	v_add_co_u32_e32 v6, vcc, s62, v6
	v_addc_co_u32_e32 v7, vcc, v17, v7, vcc
	v_add_co_u32_e32 v6, vcc, v6, v1
	v_addc_co_u32_e32 v7, vcc, 0, v7, vcc
	s_waitcnt lgkmcnt(3)
	global_store_dwordx2 v[6:7], v[2:3], off
	s_waitcnt lgkmcnt(2)
	v_lshlrev_b64 v[2:3], 3, v[11:12]
	v_mov_b32_e32 v6, s63
	v_add_co_u32_e32 v2, vcc, s62, v2
	v_addc_co_u32_e32 v3, vcc, v6, v3, vcc
	v_add_co_u32_e32 v2, vcc, v2, v1
	v_addc_co_u32_e32 v3, vcc, 0, v3, vcc
	s_waitcnt lgkmcnt(1)
	v_lshlrev_b64 v[6:7], 3, v[13:14]
	global_store_dwordx2 v[2:3], v[4:5], off offset:2048
	ds_read2st64_b64 v[2:5], v0 offset0:12 offset1:16
	v_mov_b32_e32 v11, s63
	v_add_co_u32_e32 v6, vcc, s62, v6
	v_addc_co_u32_e32 v7, vcc, v11, v7, vcc
	v_or_b32_e32 v11, 0x1000, v1
	v_add_co_u32_e32 v6, vcc, v6, v11
	v_addc_co_u32_e32 v7, vcc, 0, v7, vcc
	s_waitcnt lgkmcnt(0)
	global_store_dwordx2 v[6:7], v[2:3], off
	v_lshlrev_b64 v[2:3], 3, v[15:16]
	v_mov_b32_e32 v6, s63
	v_add_co_u32_e32 v2, vcc, s62, v2
	v_addc_co_u32_e32 v3, vcc, v6, v3, vcc
	v_or_b32_e32 v6, 0x1800, v1
	v_add_co_u32_e32 v2, vcc, v2, v6
	v_addc_co_u32_e32 v3, vcc, 0, v3, vcc
	global_store_dwordx2 v[2:3], v[4:5], off
	ds_read_b64 v[6:7], v57
	ds_read2st64_b64 v[2:5], v0 offset0:20 offset1:24
	ds_read_b64 v[11:12], v21
	ds_read_b64 v[13:14], v23
	ds_read_b64 v[15:16], v28
	s_waitcnt lgkmcnt(4)
	v_lshlrev_b64 v[6:7], 3, v[6:7]
	v_add_co_u32_e32 v6, vcc, s62, v6
	v_addc_co_u32_e32 v7, vcc, v17, v7, vcc
	v_or_b32_e32 v17, 0x2000, v1
	v_add_co_u32_e32 v6, vcc, v6, v17
	v_addc_co_u32_e32 v7, vcc, 0, v7, vcc
	s_waitcnt lgkmcnt(3)
	global_store_dwordx2 v[6:7], v[2:3], off
	s_waitcnt lgkmcnt(2)
	v_lshlrev_b64 v[2:3], 3, v[11:12]
	v_mov_b32_e32 v6, s63
	v_add_co_u32_e32 v2, vcc, s62, v2
	v_addc_co_u32_e32 v3, vcc, v6, v3, vcc
	v_or_b32_e32 v6, 0x2800, v1
	v_add_co_u32_e32 v2, vcc, v2, v6
	v_addc_co_u32_e32 v3, vcc, 0, v3, vcc
	s_waitcnt lgkmcnt(1)
	v_lshlrev_b64 v[6:7], 3, v[13:14]
	global_store_dwordx2 v[2:3], v[4:5], off
	ds_read2st64_b64 v[2:5], v0 offset0:28 offset1:32
	v_mov_b32_e32 v11, s63
	v_add_co_u32_e32 v6, vcc, s62, v6
	v_addc_co_u32_e32 v7, vcc, v11, v7, vcc
	v_or_b32_e32 v11, 0x3000, v1
	v_add_co_u32_e32 v6, vcc, v6, v11
	v_addc_co_u32_e32 v7, vcc, 0, v7, vcc
	s_waitcnt lgkmcnt(0)
	global_store_dwordx2 v[6:7], v[2:3], off
	v_lshlrev_b64 v[2:3], 3, v[15:16]
	v_mov_b32_e32 v6, s63
	v_add_co_u32_e32 v2, vcc, s62, v2
	v_addc_co_u32_e32 v3, vcc, v6, v3, vcc
	v_or_b32_e32 v6, 0x3800, v1
	v_add_co_u32_e32 v2, vcc, v2, v6
	v_addc_co_u32_e32 v3, vcc, 0, v3, vcc
	global_store_dwordx2 v[2:3], v[4:5], off
	ds_read_b64 v[6:7], v60
	ds_read2st64_b64 v[2:5], v0 offset0:36 offset1:40
	ds_read_b64 v[11:12], v62
	ds_read_b64 v[13:14], v63
	;; [unrolled: 1-line block ×3, first 2 shown]
	s_waitcnt lgkmcnt(4)
	v_lshlrev_b64 v[6:7], 3, v[6:7]
	v_mov_b32_e32 v17, s63
	v_add_co_u32_e32 v6, vcc, s62, v6
	v_addc_co_u32_e32 v7, vcc, v17, v7, vcc
	v_lshlrev_b32_e32 v17, 3, v61
	v_add_co_u32_e32 v6, vcc, v6, v17
	v_addc_co_u32_e32 v7, vcc, 0, v7, vcc
	s_waitcnt lgkmcnt(3)
	global_store_dwordx2 v[6:7], v[2:3], off
	s_waitcnt lgkmcnt(2)
	v_lshlrev_b64 v[2:3], 3, v[11:12]
	v_mov_b32_e32 v6, s63
	v_add_co_u32_e32 v2, vcc, s62, v2
	v_addc_co_u32_e32 v3, vcc, v6, v3, vcc
	v_lshlrev_b32_e32 v6, 3, v8
	v_add_co_u32_e32 v2, vcc, v2, v6
	v_addc_co_u32_e32 v3, vcc, 0, v3, vcc
	s_waitcnt lgkmcnt(1)
	v_lshlrev_b64 v[6:7], 3, v[13:14]
	global_store_dwordx2 v[2:3], v[4:5], off
	ds_read2st64_b64 v[2:5], v0 offset0:44 offset1:48
	v_mov_b32_e32 v0, s63
	v_add_co_u32_e32 v6, vcc, s62, v6
	v_addc_co_u32_e32 v0, vcc, v0, v7, vcc
	v_lshlrev_b32_e32 v7, 3, v65
	v_add_co_u32_e32 v6, vcc, v6, v7
	v_addc_co_u32_e32 v7, vcc, 0, v0, vcc
	s_waitcnt lgkmcnt(0)
	global_store_dwordx2 v[6:7], v[2:3], off
	v_lshlrev_b64 v[2:3], 3, v[15:16]
	v_mov_b32_e32 v0, s63
	v_add_co_u32_e32 v2, vcc, s62, v2
	v_addc_co_u32_e32 v0, vcc, v0, v3, vcc
	v_lshlrev_b32_e32 v3, 3, v48
	v_add_co_u32_e32 v2, vcc, v2, v3
	v_addc_co_u32_e32 v3, vcc, 0, v0, vcc
	global_store_dwordx2 v[2:3], v[4:5], off
	s_cbranch_scc1 .LBB14_195
; %bb.194:
	ds_read_b64 v[2:3], v1
	v_add_co_u32_e32 v0, vcc, v10, v9
	v_addc_co_u32_e64 v4, s[0:1], 0, 0, vcc
	s_waitcnt lgkmcnt(0)
	v_add_co_u32_e32 v2, vcc, v0, v2
	v_addc_co_u32_e32 v3, vcc, v4, v3, vcc
	global_store_dwordx2 v1, v[2:3], s[66:67]
.LBB14_195:
	s_endpgm
.LBB14_196:
	s_or_b64 exec, exec, s[0:1]
	s_and_saveexec_b64 s[0:1], s[26:27]
	s_cbranch_execz .LBB14_139
.LBB14_197:
	v_lshlrev_b32_e32 v3, 3, v62
	ds_read_b64 v[3:4], v3
	ds_read_b64 v[5:6], v32 offset:4096
	v_mov_b32_e32 v7, s63
	s_waitcnt lgkmcnt(1)
	v_lshlrev_b64 v[3:4], 3, v[3:4]
	v_add_co_u32_e32 v3, vcc, s62, v3
	v_addc_co_u32_e32 v4, vcc, v7, v4, vcc
	v_add_co_u32_e32 v3, vcc, v3, v32
	v_addc_co_u32_e32 v4, vcc, 0, v4, vcc
	s_waitcnt lgkmcnt(0)
	global_store_dwordx2 v[3:4], v[5:6], off offset:2048
	s_or_b64 exec, exec, s[0:1]
	s_and_saveexec_b64 s[0:1], s[28:29]
	s_cbranch_execnz .LBB14_140
.LBB14_198:
	s_or_b64 exec, exec, s[0:1]
	s_and_saveexec_b64 s[0:1], s[30:31]
	s_cbranch_execz .LBB14_141
.LBB14_199:
	v_lshlrev_b32_e32 v3, 3, v60
	ds_read_b64 v[3:4], v3
	ds_read_b64 v[5:6], v32 offset:8192
	v_mov_b32_e32 v7, s63
	s_waitcnt lgkmcnt(1)
	v_lshlrev_b64 v[3:4], 3, v[3:4]
	v_add_co_u32_e32 v3, vcc, s62, v3
	v_addc_co_u32_e32 v4, vcc, v7, v4, vcc
	v_lshlrev_b32_e32 v7, 3, v46
	v_add_co_u32_e32 v3, vcc, v3, v7
	v_addc_co_u32_e32 v4, vcc, 0, v4, vcc
	s_waitcnt lgkmcnt(0)
	global_store_dwordx2 v[3:4], v[5:6], off
	s_or_b64 exec, exec, s[0:1]
	s_and_saveexec_b64 s[0:1], s[34:35]
	s_cbranch_execnz .LBB14_142
.LBB14_200:
	s_or_b64 exec, exec, s[0:1]
	s_and_saveexec_b64 s[0:1], s[36:37]
	s_cbranch_execz .LBB14_143
.LBB14_201:
	v_lshlrev_b32_e32 v3, 3, v58
	ds_read_b64 v[3:4], v3
	ds_read_b64 v[5:6], v32 offset:12288
	v_mov_b32_e32 v7, s63
	s_waitcnt lgkmcnt(1)
	v_lshlrev_b64 v[3:4], 3, v[3:4]
	v_add_co_u32_e32 v3, vcc, s62, v3
	v_addc_co_u32_e32 v4, vcc, v7, v4, vcc
	v_lshlrev_b32_e32 v7, 3, v48
	v_add_co_u32_e32 v3, vcc, v3, v7
	v_addc_co_u32_e32 v4, vcc, 0, v4, vcc
	s_waitcnt lgkmcnt(0)
	global_store_dwordx2 v[3:4], v[5:6], off
	s_or_b64 exec, exec, s[0:1]
	s_and_saveexec_b64 s[0:1], s[38:39]
	s_cbranch_execnz .LBB14_144
.LBB14_202:
	s_or_b64 exec, exec, s[0:1]
	s_and_saveexec_b64 s[0:1], s[40:41]
	s_cbranch_execz .LBB14_145
.LBB14_203:
	v_lshlrev_b32_e32 v3, 3, v56
	ds_read_b64 v[3:4], v3
	ds_read_b64 v[5:6], v32 offset:16384
	v_mov_b32_e32 v7, s63
	s_waitcnt lgkmcnt(1)
	v_lshlrev_b64 v[3:4], 3, v[3:4]
	v_add_co_u32_e32 v3, vcc, s62, v3
	v_addc_co_u32_e32 v4, vcc, v7, v4, vcc
	v_lshlrev_b32_e32 v7, 3, v50
	v_add_co_u32_e32 v3, vcc, v3, v7
	v_addc_co_u32_e32 v4, vcc, 0, v4, vcc
	s_waitcnt lgkmcnt(0)
	global_store_dwordx2 v[3:4], v[5:6], off
	s_or_b64 exec, exec, s[0:1]
	s_and_saveexec_b64 s[0:1], s[42:43]
	s_cbranch_execnz .LBB14_146
.LBB14_204:
	s_or_b64 exec, exec, s[0:1]
	s_and_saveexec_b64 s[0:1], s[44:45]
	s_cbranch_execz .LBB14_147
.LBB14_205:
	v_lshlrev_b32_e32 v3, 3, v28
	ds_read_b64 v[3:4], v3
	ds_read_b64 v[5:6], v32 offset:20480
	v_mov_b32_e32 v7, s63
	s_waitcnt lgkmcnt(1)
	v_lshlrev_b64 v[3:4], 3, v[3:4]
	v_add_co_u32_e32 v3, vcc, s62, v3
	v_addc_co_u32_e32 v4, vcc, v7, v4, vcc
	v_lshlrev_b32_e32 v7, 3, v52
	v_add_co_u32_e32 v3, vcc, v3, v7
	v_addc_co_u32_e32 v4, vcc, 0, v4, vcc
	s_waitcnt lgkmcnt(0)
	global_store_dwordx2 v[3:4], v[5:6], off
	s_or_b64 exec, exec, s[0:1]
	s_and_saveexec_b64 s[0:1], s[46:47]
	s_cbranch_execnz .LBB14_148
.LBB14_206:
	s_or_b64 exec, exec, s[0:1]
	s_and_saveexec_b64 s[0:1], s[48:49]
	s_cbranch_execz .LBB14_149
.LBB14_207:
	v_lshlrev_b32_e32 v3, 3, v27
	ds_read_b64 v[3:4], v3
	ds_read_b64 v[5:6], v32 offset:24576
	v_mov_b32_e32 v7, s63
	s_waitcnt lgkmcnt(1)
	v_lshlrev_b64 v[3:4], 3, v[3:4]
	v_add_co_u32_e32 v3, vcc, s62, v3
	v_addc_co_u32_e32 v4, vcc, v7, v4, vcc
	v_lshlrev_b32_e32 v7, 3, v54
	v_add_co_u32_e32 v3, vcc, v3, v7
	v_addc_co_u32_e32 v4, vcc, 0, v4, vcc
	s_waitcnt lgkmcnt(0)
	global_store_dwordx2 v[3:4], v[5:6], off
	s_or_b64 exec, exec, s[0:1]
	s_add_i32 s33, s33, -1
	s_cmp_eq_u32 s6, s33
	s_cbranch_scc1 .LBB14_150
	s_branch .LBB14_151
	.section	.rodata,"a",@progbits
	.p2align	6, 0x0
	.amdhsa_kernel _ZN7rocprim17ROCPRIM_304000_NS6detail25onesweep_iteration_kernelINS1_34wrapped_radix_sort_onesweep_configINS0_14default_configEtN2at4cuda3cub6detail10OpaqueTypeILi8EEEEELb1EPKtPtPKSA_PSA_mNS0_19identity_decomposerEEEvT1_T2_T3_T4_jPT5_SO_PNS1_23onesweep_lookback_stateET6_jjj
		.amdhsa_group_segment_fixed_size 26624
		.amdhsa_private_segment_fixed_size 0
		.amdhsa_kernarg_size 336
		.amdhsa_user_sgpr_count 6
		.amdhsa_user_sgpr_private_segment_buffer 1
		.amdhsa_user_sgpr_dispatch_ptr 0
		.amdhsa_user_sgpr_queue_ptr 0
		.amdhsa_user_sgpr_kernarg_segment_ptr 1
		.amdhsa_user_sgpr_dispatch_id 0
		.amdhsa_user_sgpr_flat_scratch_init 0
		.amdhsa_user_sgpr_private_segment_size 0
		.amdhsa_uses_dynamic_stack 0
		.amdhsa_system_sgpr_private_segment_wavefront_offset 0
		.amdhsa_system_sgpr_workgroup_id_x 1
		.amdhsa_system_sgpr_workgroup_id_y 0
		.amdhsa_system_sgpr_workgroup_id_z 0
		.amdhsa_system_sgpr_workgroup_info 0
		.amdhsa_system_vgpr_workitem_id 2
		.amdhsa_next_free_vgpr 85
		.amdhsa_next_free_sgpr 98
		.amdhsa_reserve_vcc 1
		.amdhsa_reserve_flat_scratch 0
		.amdhsa_float_round_mode_32 0
		.amdhsa_float_round_mode_16_64 0
		.amdhsa_float_denorm_mode_32 3
		.amdhsa_float_denorm_mode_16_64 3
		.amdhsa_dx10_clamp 1
		.amdhsa_ieee_mode 1
		.amdhsa_fp16_overflow 0
		.amdhsa_exception_fp_ieee_invalid_op 0
		.amdhsa_exception_fp_denorm_src 0
		.amdhsa_exception_fp_ieee_div_zero 0
		.amdhsa_exception_fp_ieee_overflow 0
		.amdhsa_exception_fp_ieee_underflow 0
		.amdhsa_exception_fp_ieee_inexact 0
		.amdhsa_exception_int_div_zero 0
	.end_amdhsa_kernel
	.section	.text._ZN7rocprim17ROCPRIM_304000_NS6detail25onesweep_iteration_kernelINS1_34wrapped_radix_sort_onesweep_configINS0_14default_configEtN2at4cuda3cub6detail10OpaqueTypeILi8EEEEELb1EPKtPtPKSA_PSA_mNS0_19identity_decomposerEEEvT1_T2_T3_T4_jPT5_SO_PNS1_23onesweep_lookback_stateET6_jjj,"axG",@progbits,_ZN7rocprim17ROCPRIM_304000_NS6detail25onesweep_iteration_kernelINS1_34wrapped_radix_sort_onesweep_configINS0_14default_configEtN2at4cuda3cub6detail10OpaqueTypeILi8EEEEELb1EPKtPtPKSA_PSA_mNS0_19identity_decomposerEEEvT1_T2_T3_T4_jPT5_SO_PNS1_23onesweep_lookback_stateET6_jjj,comdat
.Lfunc_end14:
	.size	_ZN7rocprim17ROCPRIM_304000_NS6detail25onesweep_iteration_kernelINS1_34wrapped_radix_sort_onesweep_configINS0_14default_configEtN2at4cuda3cub6detail10OpaqueTypeILi8EEEEELb1EPKtPtPKSA_PSA_mNS0_19identity_decomposerEEEvT1_T2_T3_T4_jPT5_SO_PNS1_23onesweep_lookback_stateET6_jjj, .Lfunc_end14-_ZN7rocprim17ROCPRIM_304000_NS6detail25onesweep_iteration_kernelINS1_34wrapped_radix_sort_onesweep_configINS0_14default_configEtN2at4cuda3cub6detail10OpaqueTypeILi8EEEEELb1EPKtPtPKSA_PSA_mNS0_19identity_decomposerEEEvT1_T2_T3_T4_jPT5_SO_PNS1_23onesweep_lookback_stateET6_jjj
                                        ; -- End function
	.set _ZN7rocprim17ROCPRIM_304000_NS6detail25onesweep_iteration_kernelINS1_34wrapped_radix_sort_onesweep_configINS0_14default_configEtN2at4cuda3cub6detail10OpaqueTypeILi8EEEEELb1EPKtPtPKSA_PSA_mNS0_19identity_decomposerEEEvT1_T2_T3_T4_jPT5_SO_PNS1_23onesweep_lookback_stateET6_jjj.num_vgpr, 66
	.set _ZN7rocprim17ROCPRIM_304000_NS6detail25onesweep_iteration_kernelINS1_34wrapped_radix_sort_onesweep_configINS0_14default_configEtN2at4cuda3cub6detail10OpaqueTypeILi8EEEEELb1EPKtPtPKSA_PSA_mNS0_19identity_decomposerEEEvT1_T2_T3_T4_jPT5_SO_PNS1_23onesweep_lookback_stateET6_jjj.num_agpr, 0
	.set _ZN7rocprim17ROCPRIM_304000_NS6detail25onesweep_iteration_kernelINS1_34wrapped_radix_sort_onesweep_configINS0_14default_configEtN2at4cuda3cub6detail10OpaqueTypeILi8EEEEELb1EPKtPtPKSA_PSA_mNS0_19identity_decomposerEEEvT1_T2_T3_T4_jPT5_SO_PNS1_23onesweep_lookback_stateET6_jjj.numbered_sgpr, 75
	.set _ZN7rocprim17ROCPRIM_304000_NS6detail25onesweep_iteration_kernelINS1_34wrapped_radix_sort_onesweep_configINS0_14default_configEtN2at4cuda3cub6detail10OpaqueTypeILi8EEEEELb1EPKtPtPKSA_PSA_mNS0_19identity_decomposerEEEvT1_T2_T3_T4_jPT5_SO_PNS1_23onesweep_lookback_stateET6_jjj.num_named_barrier, 0
	.set _ZN7rocprim17ROCPRIM_304000_NS6detail25onesweep_iteration_kernelINS1_34wrapped_radix_sort_onesweep_configINS0_14default_configEtN2at4cuda3cub6detail10OpaqueTypeILi8EEEEELb1EPKtPtPKSA_PSA_mNS0_19identity_decomposerEEEvT1_T2_T3_T4_jPT5_SO_PNS1_23onesweep_lookback_stateET6_jjj.private_seg_size, 0
	.set _ZN7rocprim17ROCPRIM_304000_NS6detail25onesweep_iteration_kernelINS1_34wrapped_radix_sort_onesweep_configINS0_14default_configEtN2at4cuda3cub6detail10OpaqueTypeILi8EEEEELb1EPKtPtPKSA_PSA_mNS0_19identity_decomposerEEEvT1_T2_T3_T4_jPT5_SO_PNS1_23onesweep_lookback_stateET6_jjj.uses_vcc, 1
	.set _ZN7rocprim17ROCPRIM_304000_NS6detail25onesweep_iteration_kernelINS1_34wrapped_radix_sort_onesweep_configINS0_14default_configEtN2at4cuda3cub6detail10OpaqueTypeILi8EEEEELb1EPKtPtPKSA_PSA_mNS0_19identity_decomposerEEEvT1_T2_T3_T4_jPT5_SO_PNS1_23onesweep_lookback_stateET6_jjj.uses_flat_scratch, 0
	.set _ZN7rocprim17ROCPRIM_304000_NS6detail25onesweep_iteration_kernelINS1_34wrapped_radix_sort_onesweep_configINS0_14default_configEtN2at4cuda3cub6detail10OpaqueTypeILi8EEEEELb1EPKtPtPKSA_PSA_mNS0_19identity_decomposerEEEvT1_T2_T3_T4_jPT5_SO_PNS1_23onesweep_lookback_stateET6_jjj.has_dyn_sized_stack, 0
	.set _ZN7rocprim17ROCPRIM_304000_NS6detail25onesweep_iteration_kernelINS1_34wrapped_radix_sort_onesweep_configINS0_14default_configEtN2at4cuda3cub6detail10OpaqueTypeILi8EEEEELb1EPKtPtPKSA_PSA_mNS0_19identity_decomposerEEEvT1_T2_T3_T4_jPT5_SO_PNS1_23onesweep_lookback_stateET6_jjj.has_recursion, 0
	.set _ZN7rocprim17ROCPRIM_304000_NS6detail25onesweep_iteration_kernelINS1_34wrapped_radix_sort_onesweep_configINS0_14default_configEtN2at4cuda3cub6detail10OpaqueTypeILi8EEEEELb1EPKtPtPKSA_PSA_mNS0_19identity_decomposerEEEvT1_T2_T3_T4_jPT5_SO_PNS1_23onesweep_lookback_stateET6_jjj.has_indirect_call, 0
	.section	.AMDGPU.csdata,"",@progbits
; Kernel info:
; codeLenInByte = 19212
; TotalNumSgprs: 79
; NumVgprs: 66
; ScratchSize: 0
; MemoryBound: 0
; FloatMode: 240
; IeeeMode: 1
; LDSByteSize: 26624 bytes/workgroup (compile time only)
; SGPRBlocks: 12
; VGPRBlocks: 21
; NumSGPRsForWavesPerEU: 102
; NumVGPRsForWavesPerEU: 85
; Occupancy: 2
; WaveLimiterHint : 1
; COMPUTE_PGM_RSRC2:SCRATCH_EN: 0
; COMPUTE_PGM_RSRC2:USER_SGPR: 6
; COMPUTE_PGM_RSRC2:TRAP_HANDLER: 0
; COMPUTE_PGM_RSRC2:TGID_X_EN: 1
; COMPUTE_PGM_RSRC2:TGID_Y_EN: 0
; COMPUTE_PGM_RSRC2:TGID_Z_EN: 0
; COMPUTE_PGM_RSRC2:TIDIG_COMP_CNT: 2
	.section	.text._ZN7rocprim17ROCPRIM_304000_NS6detail25onesweep_iteration_kernelINS1_34wrapped_radix_sort_onesweep_configINS0_14default_configEtN2at4cuda3cub6detail10OpaqueTypeILi8EEEEELb1EPtSC_PSA_SD_mNS0_19identity_decomposerEEEvT1_T2_T3_T4_jPT5_SK_PNS1_23onesweep_lookback_stateET6_jjj,"axG",@progbits,_ZN7rocprim17ROCPRIM_304000_NS6detail25onesweep_iteration_kernelINS1_34wrapped_radix_sort_onesweep_configINS0_14default_configEtN2at4cuda3cub6detail10OpaqueTypeILi8EEEEELb1EPtSC_PSA_SD_mNS0_19identity_decomposerEEEvT1_T2_T3_T4_jPT5_SK_PNS1_23onesweep_lookback_stateET6_jjj,comdat
	.protected	_ZN7rocprim17ROCPRIM_304000_NS6detail25onesweep_iteration_kernelINS1_34wrapped_radix_sort_onesweep_configINS0_14default_configEtN2at4cuda3cub6detail10OpaqueTypeILi8EEEEELb1EPtSC_PSA_SD_mNS0_19identity_decomposerEEEvT1_T2_T3_T4_jPT5_SK_PNS1_23onesweep_lookback_stateET6_jjj ; -- Begin function _ZN7rocprim17ROCPRIM_304000_NS6detail25onesweep_iteration_kernelINS1_34wrapped_radix_sort_onesweep_configINS0_14default_configEtN2at4cuda3cub6detail10OpaqueTypeILi8EEEEELb1EPtSC_PSA_SD_mNS0_19identity_decomposerEEEvT1_T2_T3_T4_jPT5_SK_PNS1_23onesweep_lookback_stateET6_jjj
	.globl	_ZN7rocprim17ROCPRIM_304000_NS6detail25onesweep_iteration_kernelINS1_34wrapped_radix_sort_onesweep_configINS0_14default_configEtN2at4cuda3cub6detail10OpaqueTypeILi8EEEEELb1EPtSC_PSA_SD_mNS0_19identity_decomposerEEEvT1_T2_T3_T4_jPT5_SK_PNS1_23onesweep_lookback_stateET6_jjj
	.p2align	8
	.type	_ZN7rocprim17ROCPRIM_304000_NS6detail25onesweep_iteration_kernelINS1_34wrapped_radix_sort_onesweep_configINS0_14default_configEtN2at4cuda3cub6detail10OpaqueTypeILi8EEEEELb1EPtSC_PSA_SD_mNS0_19identity_decomposerEEEvT1_T2_T3_T4_jPT5_SK_PNS1_23onesweep_lookback_stateET6_jjj,@function
_ZN7rocprim17ROCPRIM_304000_NS6detail25onesweep_iteration_kernelINS1_34wrapped_radix_sort_onesweep_configINS0_14default_configEtN2at4cuda3cub6detail10OpaqueTypeILi8EEEEELb1EPtSC_PSA_SD_mNS0_19identity_decomposerEEEvT1_T2_T3_T4_jPT5_SK_PNS1_23onesweep_lookback_stateET6_jjj: ; @_ZN7rocprim17ROCPRIM_304000_NS6detail25onesweep_iteration_kernelINS1_34wrapped_radix_sort_onesweep_configINS0_14default_configEtN2at4cuda3cub6detail10OpaqueTypeILi8EEEEELb1EPtSC_PSA_SD_mNS0_19identity_decomposerEEEvT1_T2_T3_T4_jPT5_SK_PNS1_23onesweep_lookback_stateET6_jjj
; %bb.0:
	s_load_dwordx8 s[56:63], s[4:5], 0x0
	s_load_dwordx4 s[68:71], s[4:5], 0x44
	s_load_dwordx4 s[64:67], s[4:5], 0x28
	s_load_dwordx2 s[72:73], s[4:5], 0x38
	s_mov_b32 s7, s6
	s_mov_b64 s[0:1], -1
	s_waitcnt lgkmcnt(0)
	s_cmp_ge_u32 s6, s70
	s_mul_i32 s54, s6, 0xc00
	v_mbcnt_lo_u32_b32 v29, -1, 0
	s_cbranch_scc0 .LBB15_152
; %bb.1:
	s_load_dword s2, s[4:5], 0x20
	s_mulk_i32 s70, 0xf400
	s_mov_b32 s55, 0
	s_lshl_b64 s[0:1], s[54:55], 1
	v_mbcnt_hi_u32_b32 v13, -1, v29
	s_waitcnt lgkmcnt(0)
	s_add_i32 s70, s70, s2
	s_add_u32 s0, s56, s0
	s_addc_u32 s1, s57, s1
	v_and_b32_e32 v15, 0xc0, v0
	v_lshlrev_b32_e32 v4, 1, v13
	v_mul_u32_u24_e32 v14, 12, v15
	v_mov_b32_e32 v5, s1
	v_add_co_u32_e32 v4, vcc, s0, v4
	v_addc_co_u32_e32 v5, vcc, 0, v5, vcc
	v_lshlrev_b32_e32 v6, 1, v14
	v_add_co_u32_e32 v11, vcc, v4, v6
	v_mov_b32_e32 v3, 0
	v_addc_co_u32_e32 v12, vcc, 0, v5, vcc
	v_or_b32_e32 v16, v13, v14
	v_cmp_gt_u32_e32 vcc, s70, v16
	v_mov_b32_e32 v4, v3
	v_mov_b32_e32 v5, v3
	;; [unrolled: 1-line block ×5, first 2 shown]
	s_and_saveexec_b64 s[0:1], vcc
	s_cbranch_execz .LBB15_3
; %bb.2:
	global_load_ushort v4, v[11:12], off
	v_mov_b32_e32 v5, v3
	v_mov_b32_e32 v6, v3
	;; [unrolled: 1-line block ×5, first 2 shown]
	s_waitcnt vmcnt(0)
	v_and_b32_e32 v4, 0xffff, v4
	v_mov_b32_e32 v3, v4
	v_mov_b32_e32 v4, v5
	;; [unrolled: 1-line block ×8, first 2 shown]
.LBB15_3:
	s_or_b64 exec, exec, s[0:1]
	v_add_u32_e32 v9, 64, v16
	v_cmp_gt_u32_e64 s[0:1], s70, v9
	s_and_saveexec_b64 s[2:3], s[0:1]
	s_cbranch_execz .LBB15_5
; %bb.4:
	global_load_ushort v9, v[11:12], off offset:128
	s_mov_b32 s8, 0x5040100
	s_waitcnt vmcnt(0)
	v_perm_b32 v3, v9, v3, s8
.LBB15_5:
	s_or_b64 exec, exec, s[2:3]
	v_add_u32_e32 v9, 0x80, v16
	v_cmp_gt_u32_e64 s[2:3], s70, v9
	s_and_saveexec_b64 s[8:9], s[2:3]
	s_cbranch_execz .LBB15_7
; %bb.6:
	global_load_ushort v9, v[11:12], off offset:256
	s_mov_b32 s10, 0xffff
	s_waitcnt vmcnt(0)
	v_bfi_b32 v4, s10, v9, v4
.LBB15_7:
	s_or_b64 exec, exec, s[8:9]
	v_add_u32_e32 v9, 0xc0, v16
	v_cmp_gt_u32_e64 s[50:51], s70, v9
	s_and_saveexec_b64 s[8:9], s[50:51]
	s_cbranch_execz .LBB15_9
; %bb.8:
	global_load_ushort v9, v[11:12], off offset:384
	s_mov_b32 s10, 0x5040100
	s_waitcnt vmcnt(0)
	v_perm_b32 v4, v9, v4, s10
.LBB15_9:
	s_or_b64 exec, exec, s[8:9]
	v_add_u32_e32 v9, 0x100, v16
	v_cmp_gt_u32_e64 s[8:9], s70, v9
	s_and_saveexec_b64 s[10:11], s[8:9]
	s_cbranch_execz .LBB15_11
; %bb.10:
	global_load_ushort v9, v[11:12], off offset:512
	s_mov_b32 s12, 0xffff
	s_waitcnt vmcnt(0)
	v_bfi_b32 v5, s12, v9, v5
.LBB15_11:
	;; [unrolled: 22-line block ×5, first 2 shown]
	s_or_b64 exec, exec, s[22:23]
	v_add_u32_e32 v9, 0x2c0, v16
	v_cmp_gt_u32_e64 s[22:23], s70, v9
	s_and_saveexec_b64 s[24:25], s[22:23]
	s_cbranch_execz .LBB15_25
; %bb.24:
	global_load_ushort v9, v[11:12], off offset:1408
	s_mov_b32 s26, 0x5040100
	s_waitcnt vmcnt(0)
	v_perm_b32 v8, v9, v8, s26
.LBB15_25:
	s_or_b64 exec, exec, s[24:25]
	s_load_dword s24, s[4:5], 0x5c
	s_load_dword s33, s[4:5], 0x50
	s_add_u32 s25, s4, 0x50
	s_addc_u32 s26, s5, 0
	v_mov_b32_e32 v9, 0
	s_waitcnt lgkmcnt(0)
	s_lshr_b32 s27, s24, 16
	s_cmp_lt_u32 s6, s33
	s_cselect_b32 s24, 12, 18
	s_add_u32 s24, s25, s24
	s_addc_u32 s25, s26, 0
	global_load_ushort v11, v9, s[24:25]
	v_xor_b32_e32 v12, -1, v3
	s_lshl_b32 s24, -1, s69
	v_lshrrev_b32_sdwa v10, s68, v12 dst_sel:DWORD dst_unused:UNUSED_PAD src0_sel:DWORD src1_sel:WORD_0
	s_not_b32 s74, s24
	v_and_b32_e32 v18, s74, v10
	v_and_b32_e32 v20, 1, v18
	v_add_co_u32_e64 v21, s[24:25], -1, v20
	v_lshlrev_b32_e32 v10, 30, v18
	v_addc_co_u32_e64 v22, s[24:25], 0, -1, s[24:25]
	v_mad_u32_u24 v17, v2, s27, v1
	v_cmp_ne_u32_e64 s[24:25], 0, v20
	v_cmp_gt_i64_e64 s[26:27], 0, v[9:10]
	v_not_b32_e32 v20, v10
	v_lshlrev_b32_e32 v10, 29, v18
	v_xor_b32_e32 v22, s25, v22
	v_xor_b32_e32 v21, s24, v21
	v_ashrrev_i32_e32 v20, 31, v20
	v_cmp_gt_i64_e64 s[24:25], 0, v[9:10]
	v_not_b32_e32 v23, v10
	v_lshlrev_b32_e32 v10, 28, v18
	v_and_b32_e32 v22, exec_hi, v22
	v_and_b32_e32 v21, exec_lo, v21
	v_xor_b32_e32 v24, s27, v20
	v_xor_b32_e32 v20, s26, v20
	v_ashrrev_i32_e32 v23, 31, v23
	v_cmp_gt_i64_e64 s[26:27], 0, v[9:10]
	v_not_b32_e32 v25, v10
	v_lshlrev_b32_e32 v10, 27, v18
	v_and_b32_e32 v22, v22, v24
	v_and_b32_e32 v20, v21, v20
	v_xor_b32_e32 v21, s25, v23
	v_xor_b32_e32 v23, s24, v23
	v_ashrrev_i32_e32 v24, 31, v25
	v_cmp_gt_i64_e64 s[24:25], 0, v[9:10]
	v_not_b32_e32 v25, v10
	v_lshlrev_b32_e32 v10, 26, v18
	v_and_b32_e32 v21, v22, v21
	v_and_b32_e32 v20, v20, v23
	;; [unrolled: 8-line block ×3, first 2 shown]
	v_xor_b32_e32 v22, s25, v24
	v_xor_b32_e32 v23, s24, v24
	v_ashrrev_i32_e32 v24, 31, v25
	v_cmp_gt_i64_e64 s[24:25], 0, v[9:10]
	v_not_b32_e32 v25, v10
	v_mul_u32_u24_e32 v19, 20, v18
	v_lshlrev_b32_e32 v10, 24, v18
	v_and_b32_e32 v18, v21, v22
	v_and_b32_e32 v20, v20, v23
	v_xor_b32_e32 v21, s27, v24
	v_ashrrev_i32_e32 v23, 31, v25
	v_xor_b32_e32 v22, s26, v24
	v_and_b32_e32 v18, v18, v21
	v_xor_b32_e32 v21, s25, v23
	v_and_b32_e32 v20, v20, v22
	;; [unrolled: 2-line block ×3, first 2 shown]
	v_cmp_gt_i64_e64 s[26:27], 0, v[9:10]
	v_not_b32_e32 v10, v10
	v_ashrrev_i32_e32 v10, 31, v10
	v_and_b32_e32 v20, v20, v22
	v_xor_b32_e32 v22, s27, v10
	v_xor_b32_e32 v10, s26, v10
	v_and_b32_e32 v10, v20, v10
	v_mul_u32_u24_e32 v16, 20, v0
	ds_write2_b32 v16, v9, v9 offset0:4 offset1:5
	ds_write2_b32 v16, v9, v9 offset0:6 offset1:7
	ds_write_b32 v16, v9 offset:32
	s_waitcnt vmcnt(0) lgkmcnt(0)
	s_barrier
	; wave barrier
	v_mad_u64_u32 v[17:18], s[24:25], v17, v11, v[0:1]
	v_and_b32_e32 v11, v21, v22
	v_cmp_ne_u64_e64 s[24:25], 0, v[10:11]
	v_lshrrev_b32_e32 v17, 4, v17
	v_and_b32_e32 v25, 0xffffffc, v17
	v_mbcnt_lo_u32_b32 v17, v10, 0
	v_mbcnt_hi_u32_b32 v17, v11, v17
	v_cmp_eq_u32_e64 s[26:27], 0, v17
	s_and_b64 s[26:27], s[24:25], s[26:27]
	v_add_u32_e32 v20, v25, v19
	s_and_saveexec_b64 s[24:25], s[26:27]
; %bb.26:
	v_bcnt_u32_b32 v10, v10, 0
	v_bcnt_u32_b32 v10, v11, v10
	ds_write_b32 v20, v10 offset:16
; %bb.27:
	s_or_b64 exec, exec, s[24:25]
	v_mov_b32_e32 v10, -1
	v_xor_b32_sdwa v18, v3, v10 dst_sel:DWORD dst_unused:UNUSED_PAD src0_sel:WORD_1 src1_sel:DWORD
	v_lshrrev_b32_sdwa v3, s68, v18 dst_sel:DWORD dst_unused:UNUSED_PAD src0_sel:DWORD src1_sel:WORD_0
	v_and_b32_e32 v3, s74, v3
	v_mad_u32_u24 v10, v3, 20, v25
	; wave barrier
	ds_read_b32 v19, v10 offset:16
	v_and_b32_e32 v10, 1, v3
	v_add_co_u32_e64 v21, s[24:25], -1, v10
	v_addc_co_u32_e64 v22, s[24:25], 0, -1, s[24:25]
	v_cmp_ne_u32_e64 s[24:25], 0, v10
	v_xor_b32_e32 v10, s25, v22
	v_and_b32_e32 v22, exec_hi, v10
	v_lshlrev_b32_e32 v10, 30, v3
	v_xor_b32_e32 v21, s24, v21
	v_cmp_gt_i64_e64 s[24:25], 0, v[9:10]
	v_not_b32_e32 v10, v10
	v_ashrrev_i32_e32 v10, 31, v10
	v_and_b32_e32 v21, exec_lo, v21
	v_xor_b32_e32 v23, s25, v10
	v_xor_b32_e32 v10, s24, v10
	v_and_b32_e32 v21, v21, v10
	v_lshlrev_b32_e32 v10, 29, v3
	v_cmp_gt_i64_e64 s[24:25], 0, v[9:10]
	v_not_b32_e32 v10, v10
	v_ashrrev_i32_e32 v10, 31, v10
	v_and_b32_e32 v22, v22, v23
	v_xor_b32_e32 v23, s25, v10
	v_xor_b32_e32 v10, s24, v10
	v_and_b32_e32 v21, v21, v10
	v_lshlrev_b32_e32 v10, 28, v3
	v_cmp_gt_i64_e64 s[24:25], 0, v[9:10]
	v_not_b32_e32 v10, v10
	v_ashrrev_i32_e32 v10, 31, v10
	v_and_b32_e32 v22, v22, v23
	v_xor_b32_e32 v23, s25, v10
	v_xor_b32_e32 v10, s24, v10
	v_and_b32_e32 v21, v21, v10
	v_lshlrev_b32_e32 v10, 27, v3
	v_cmp_gt_i64_e64 s[24:25], 0, v[9:10]
	v_not_b32_e32 v10, v10
	v_ashrrev_i32_e32 v10, 31, v10
	v_and_b32_e32 v22, v22, v23
	v_xor_b32_e32 v23, s25, v10
	v_xor_b32_e32 v10, s24, v10
	v_and_b32_e32 v21, v21, v10
	v_lshlrev_b32_e32 v10, 26, v3
	v_cmp_gt_i64_e64 s[24:25], 0, v[9:10]
	v_not_b32_e32 v10, v10
	v_ashrrev_i32_e32 v10, 31, v10
	v_and_b32_e32 v22, v22, v23
	v_xor_b32_e32 v23, s25, v10
	v_xor_b32_e32 v10, s24, v10
	v_and_b32_e32 v21, v21, v10
	v_lshlrev_b32_e32 v10, 25, v3
	v_cmp_gt_i64_e64 s[24:25], 0, v[9:10]
	v_not_b32_e32 v10, v10
	v_ashrrev_i32_e32 v10, 31, v10
	v_and_b32_e32 v22, v22, v23
	v_xor_b32_e32 v23, s25, v10
	v_xor_b32_e32 v10, s24, v10
	v_and_b32_e32 v21, v21, v10
	v_lshlrev_b32_e32 v10, 24, v3
	v_mul_u32_u24_e32 v11, 20, v3
	v_cmp_gt_i64_e64 s[24:25], 0, v[9:10]
	v_not_b32_e32 v3, v10
	v_ashrrev_i32_e32 v3, 31, v3
	v_and_b32_e32 v22, v22, v23
	v_xor_b32_e32 v9, s25, v3
	v_xor_b32_e32 v3, s24, v3
	v_and_b32_e32 v10, v22, v9
	v_and_b32_e32 v9, v21, v3
	v_mbcnt_lo_u32_b32 v3, v9, 0
	v_mbcnt_hi_u32_b32 v22, v10, v3
	v_cmp_ne_u64_e64 s[24:25], 0, v[9:10]
	v_cmp_eq_u32_e64 s[26:27], 0, v22
	s_and_b64 s[26:27], s[24:25], s[26:27]
	v_add_u32_e32 v24, v25, v11
	; wave barrier
	s_and_saveexec_b64 s[24:25], s[26:27]
	s_cbranch_execz .LBB15_29
; %bb.28:
	v_bcnt_u32_b32 v3, v9, 0
	v_bcnt_u32_b32 v3, v10, v3
	s_waitcnt lgkmcnt(0)
	v_add_u32_e32 v3, v19, v3
	ds_write_b32 v24, v3 offset:16
.LBB15_29:
	s_or_b64 exec, exec, s[24:25]
	v_xor_b32_e32 v21, -1, v4
	v_lshrrev_b32_sdwa v3, s68, v21 dst_sel:DWORD dst_unused:UNUSED_PAD src0_sel:DWORD src1_sel:WORD_0
	v_and_b32_e32 v3, s74, v3
	v_and_b32_e32 v10, 1, v3
	v_add_co_u32_e64 v11, s[24:25], -1, v10
	v_addc_co_u32_e64 v26, s[24:25], 0, -1, s[24:25]
	v_cmp_ne_u32_e64 s[24:25], 0, v10
	v_mad_u32_u24 v9, v3, 20, v25
	v_xor_b32_e32 v10, s25, v26
	; wave barrier
	ds_read_b32 v23, v9 offset:16
	v_mov_b32_e32 v9, 0
	v_and_b32_e32 v26, exec_hi, v10
	v_lshlrev_b32_e32 v10, 30, v3
	v_xor_b32_e32 v11, s24, v11
	v_cmp_gt_i64_e64 s[24:25], 0, v[9:10]
	v_not_b32_e32 v10, v10
	v_ashrrev_i32_e32 v10, 31, v10
	v_and_b32_e32 v11, exec_lo, v11
	v_xor_b32_e32 v28, s25, v10
	v_xor_b32_e32 v10, s24, v10
	v_and_b32_e32 v11, v11, v10
	v_lshlrev_b32_e32 v10, 29, v3
	v_cmp_gt_i64_e64 s[24:25], 0, v[9:10]
	v_not_b32_e32 v10, v10
	v_ashrrev_i32_e32 v10, 31, v10
	v_and_b32_e32 v26, v26, v28
	v_xor_b32_e32 v28, s25, v10
	v_xor_b32_e32 v10, s24, v10
	v_and_b32_e32 v11, v11, v10
	v_lshlrev_b32_e32 v10, 28, v3
	v_cmp_gt_i64_e64 s[24:25], 0, v[9:10]
	v_not_b32_e32 v10, v10
	v_ashrrev_i32_e32 v10, 31, v10
	v_and_b32_e32 v26, v26, v28
	;; [unrolled: 8-line block ×5, first 2 shown]
	v_xor_b32_e32 v28, s25, v10
	v_xor_b32_e32 v10, s24, v10
	v_and_b32_e32 v26, v26, v28
	v_and_b32_e32 v28, v11, v10
	v_lshlrev_b32_e32 v10, 24, v3
	v_mul_u32_u24_e32 v27, 20, v3
	v_cmp_gt_i64_e64 s[24:25], 0, v[9:10]
	v_not_b32_e32 v3, v10
	v_ashrrev_i32_e32 v3, 31, v3
	v_xor_b32_e32 v10, s25, v3
	v_xor_b32_e32 v3, s24, v3
	v_and_b32_e32 v11, v26, v10
	v_and_b32_e32 v10, v28, v3
	v_mbcnt_lo_u32_b32 v3, v10, 0
	v_mbcnt_hi_u32_b32 v26, v11, v3
	v_cmp_ne_u64_e64 s[24:25], 0, v[10:11]
	v_cmp_eq_u32_e64 s[26:27], 0, v26
	s_and_b64 s[26:27], s[24:25], s[26:27]
	v_add_u32_e32 v28, v25, v27
	; wave barrier
	s_and_saveexec_b64 s[24:25], s[26:27]
	s_cbranch_execz .LBB15_31
; %bb.30:
	v_bcnt_u32_b32 v3, v10, 0
	v_bcnt_u32_b32 v3, v11, v3
	s_waitcnt lgkmcnt(0)
	v_add_u32_e32 v3, v23, v3
	ds_write_b32 v28, v3 offset:16
.LBB15_31:
	s_or_b64 exec, exec, s[24:25]
	v_mov_b32_e32 v3, -1
	v_xor_b32_sdwa v11, v4, v3 dst_sel:DWORD dst_unused:UNUSED_PAD src0_sel:WORD_1 src1_sel:DWORD
	v_lshrrev_b32_sdwa v3, s68, v11 dst_sel:DWORD dst_unused:UNUSED_PAD src0_sel:DWORD src1_sel:WORD_0
	v_and_b32_e32 v3, s74, v3
	v_mad_u32_u24 v4, v3, 20, v25
	; wave barrier
	ds_read_b32 v27, v4 offset:16
	v_and_b32_e32 v4, 1, v3
	v_add_co_u32_e64 v10, s[24:25], -1, v4
	v_addc_co_u32_e64 v31, s[24:25], 0, -1, s[24:25]
	v_cmp_ne_u32_e64 s[24:25], 0, v4
	v_xor_b32_e32 v10, s24, v10
	v_xor_b32_e32 v4, s25, v31
	v_and_b32_e32 v31, exec_lo, v10
	v_lshlrev_b32_e32 v10, 30, v3
	v_cmp_gt_i64_e64 s[24:25], 0, v[9:10]
	v_not_b32_e32 v10, v10
	v_ashrrev_i32_e32 v10, 31, v10
	v_xor_b32_e32 v32, s25, v10
	v_xor_b32_e32 v10, s24, v10
	v_and_b32_e32 v31, v31, v10
	v_lshlrev_b32_e32 v10, 29, v3
	v_cmp_gt_i64_e64 s[24:25], 0, v[9:10]
	v_not_b32_e32 v10, v10
	v_and_b32_e32 v4, exec_hi, v4
	v_ashrrev_i32_e32 v10, 31, v10
	v_and_b32_e32 v4, v4, v32
	v_xor_b32_e32 v32, s25, v10
	v_xor_b32_e32 v10, s24, v10
	v_and_b32_e32 v31, v31, v10
	v_lshlrev_b32_e32 v10, 28, v3
	v_cmp_gt_i64_e64 s[24:25], 0, v[9:10]
	v_not_b32_e32 v10, v10
	v_ashrrev_i32_e32 v10, 31, v10
	v_and_b32_e32 v4, v4, v32
	v_xor_b32_e32 v32, s25, v10
	v_xor_b32_e32 v10, s24, v10
	v_and_b32_e32 v31, v31, v10
	v_lshlrev_b32_e32 v10, 27, v3
	v_cmp_gt_i64_e64 s[24:25], 0, v[9:10]
	v_not_b32_e32 v10, v10
	;; [unrolled: 8-line block ×4, first 2 shown]
	v_ashrrev_i32_e32 v10, 31, v10
	v_and_b32_e32 v4, v4, v32
	v_xor_b32_e32 v32, s25, v10
	v_xor_b32_e32 v10, s24, v10
	v_and_b32_e32 v31, v31, v10
	v_lshlrev_b32_e32 v10, 24, v3
	v_mul_u32_u24_e32 v30, 20, v3
	v_cmp_gt_i64_e64 s[24:25], 0, v[9:10]
	v_not_b32_e32 v3, v10
	v_ashrrev_i32_e32 v3, 31, v3
	v_xor_b32_e32 v9, s25, v3
	v_xor_b32_e32 v3, s24, v3
	v_and_b32_e32 v4, v4, v32
	v_and_b32_e32 v3, v31, v3
	;; [unrolled: 1-line block ×3, first 2 shown]
	v_mbcnt_lo_u32_b32 v9, v3, 0
	v_mbcnt_hi_u32_b32 v32, v4, v9
	v_cmp_ne_u64_e64 s[24:25], 0, v[3:4]
	v_cmp_eq_u32_e64 s[26:27], 0, v32
	s_and_b64 s[26:27], s[24:25], s[26:27]
	v_add_u32_e32 v30, v25, v30
	; wave barrier
	s_and_saveexec_b64 s[24:25], s[26:27]
	s_cbranch_execz .LBB15_33
; %bb.32:
	v_bcnt_u32_b32 v3, v3, 0
	v_bcnt_u32_b32 v3, v4, v3
	s_waitcnt lgkmcnt(0)
	v_add_u32_e32 v3, v27, v3
	ds_write_b32 v30, v3 offset:16
.LBB15_33:
	s_or_b64 exec, exec, s[24:25]
	v_xor_b32_e32 v31, -1, v5
	v_lshrrev_b32_sdwa v3, s68, v31 dst_sel:DWORD dst_unused:UNUSED_PAD src0_sel:DWORD src1_sel:WORD_0
	v_and_b32_e32 v9, s74, v3
	v_and_b32_e32 v4, 1, v9
	v_add_co_u32_e64 v10, s[24:25], -1, v4
	v_addc_co_u32_e64 v34, s[24:25], 0, -1, s[24:25]
	v_cmp_ne_u32_e64 s[24:25], 0, v4
	v_mad_u32_u24 v3, v9, 20, v25
	v_xor_b32_e32 v4, s25, v34
	; wave barrier
	ds_read_b32 v33, v3 offset:16
	v_mov_b32_e32 v3, 0
	v_and_b32_e32 v34, exec_hi, v4
	v_lshlrev_b32_e32 v4, 30, v9
	v_xor_b32_e32 v10, s24, v10
	v_cmp_gt_i64_e64 s[24:25], 0, v[3:4]
	v_not_b32_e32 v4, v4
	v_ashrrev_i32_e32 v4, 31, v4
	v_and_b32_e32 v10, exec_lo, v10
	v_xor_b32_e32 v36, s25, v4
	v_xor_b32_e32 v4, s24, v4
	v_and_b32_e32 v10, v10, v4
	v_lshlrev_b32_e32 v4, 29, v9
	v_cmp_gt_i64_e64 s[24:25], 0, v[3:4]
	v_not_b32_e32 v4, v4
	v_ashrrev_i32_e32 v4, 31, v4
	v_and_b32_e32 v34, v34, v36
	v_xor_b32_e32 v36, s25, v4
	v_xor_b32_e32 v4, s24, v4
	v_and_b32_e32 v10, v10, v4
	v_lshlrev_b32_e32 v4, 28, v9
	v_cmp_gt_i64_e64 s[24:25], 0, v[3:4]
	v_not_b32_e32 v4, v4
	v_ashrrev_i32_e32 v4, 31, v4
	v_and_b32_e32 v34, v34, v36
	;; [unrolled: 8-line block ×5, first 2 shown]
	v_xor_b32_e32 v36, s25, v4
	v_xor_b32_e32 v4, s24, v4
	v_and_b32_e32 v34, v34, v36
	v_and_b32_e32 v36, v10, v4
	v_lshlrev_b32_e32 v4, 24, v9
	v_cmp_gt_i64_e64 s[24:25], 0, v[3:4]
	v_not_b32_e32 v4, v4
	v_ashrrev_i32_e32 v4, 31, v4
	v_mul_u32_u24_e32 v35, 20, v9
	v_xor_b32_e32 v9, s25, v4
	v_xor_b32_e32 v4, s24, v4
	v_and_b32_e32 v10, v34, v9
	v_and_b32_e32 v9, v36, v4
	v_mbcnt_lo_u32_b32 v4, v9, 0
	v_mbcnt_hi_u32_b32 v34, v10, v4
	v_cmp_ne_u64_e64 s[24:25], 0, v[9:10]
	v_cmp_eq_u32_e64 s[26:27], 0, v34
	s_and_b64 s[26:27], s[24:25], s[26:27]
	v_add_u32_e32 v35, v25, v35
	; wave barrier
	s_and_saveexec_b64 s[24:25], s[26:27]
	s_cbranch_execz .LBB15_35
; %bb.34:
	v_bcnt_u32_b32 v4, v9, 0
	v_bcnt_u32_b32 v4, v10, v4
	s_waitcnt lgkmcnt(0)
	v_add_u32_e32 v4, v33, v4
	ds_write_b32 v35, v4 offset:16
.LBB15_35:
	s_or_b64 exec, exec, s[24:25]
	v_mov_b32_e32 v4, -1
	v_xor_b32_sdwa v9, v5, v4 dst_sel:DWORD dst_unused:UNUSED_PAD src0_sel:WORD_1 src1_sel:DWORD
	v_lshrrev_b32_sdwa v4, s68, v9 dst_sel:DWORD dst_unused:UNUSED_PAD src0_sel:DWORD src1_sel:WORD_0
	v_and_b32_e32 v5, s74, v4
	v_mad_u32_u24 v4, v5, 20, v25
	; wave barrier
	ds_read_b32 v10, v4 offset:16
	v_and_b32_e32 v4, 1, v5
	v_add_co_u32_e64 v36, s[24:25], -1, v4
	v_addc_co_u32_e64 v38, s[24:25], 0, -1, s[24:25]
	v_cmp_ne_u32_e64 s[24:25], 0, v4
	v_xor_b32_e32 v4, s25, v38
	v_and_b32_e32 v38, exec_hi, v4
	v_lshlrev_b32_e32 v4, 30, v5
	v_xor_b32_e32 v36, s24, v36
	v_cmp_gt_i64_e64 s[24:25], 0, v[3:4]
	v_not_b32_e32 v4, v4
	v_ashrrev_i32_e32 v4, 31, v4
	v_and_b32_e32 v36, exec_lo, v36
	v_xor_b32_e32 v39, s25, v4
	v_xor_b32_e32 v4, s24, v4
	v_and_b32_e32 v36, v36, v4
	v_lshlrev_b32_e32 v4, 29, v5
	v_cmp_gt_i64_e64 s[24:25], 0, v[3:4]
	v_not_b32_e32 v4, v4
	v_ashrrev_i32_e32 v4, 31, v4
	v_and_b32_e32 v38, v38, v39
	v_xor_b32_e32 v39, s25, v4
	v_xor_b32_e32 v4, s24, v4
	v_and_b32_e32 v36, v36, v4
	v_lshlrev_b32_e32 v4, 28, v5
	v_cmp_gt_i64_e64 s[24:25], 0, v[3:4]
	v_not_b32_e32 v4, v4
	v_ashrrev_i32_e32 v4, 31, v4
	v_and_b32_e32 v38, v38, v39
	;; [unrolled: 8-line block ×5, first 2 shown]
	v_xor_b32_e32 v39, s25, v4
	v_xor_b32_e32 v4, s24, v4
	v_and_b32_e32 v36, v36, v4
	v_lshlrev_b32_e32 v4, 24, v5
	v_cmp_gt_i64_e64 s[24:25], 0, v[3:4]
	v_not_b32_e32 v3, v4
	v_ashrrev_i32_e32 v3, 31, v3
	v_xor_b32_e32 v4, s25, v3
	v_xor_b32_e32 v3, s24, v3
	v_and_b32_e32 v38, v38, v39
	v_and_b32_e32 v3, v36, v3
	v_mul_u32_u24_e32 v37, 20, v5
	v_and_b32_e32 v4, v38, v4
	v_mbcnt_lo_u32_b32 v5, v3, 0
	v_mbcnt_hi_u32_b32 v36, v4, v5
	v_cmp_ne_u64_e64 s[24:25], 0, v[3:4]
	v_cmp_eq_u32_e64 s[26:27], 0, v36
	s_and_b64 s[26:27], s[24:25], s[26:27]
	v_add_u32_e32 v38, v25, v37
	; wave barrier
	s_and_saveexec_b64 s[24:25], s[26:27]
	s_cbranch_execz .LBB15_37
; %bb.36:
	v_bcnt_u32_b32 v3, v3, 0
	v_bcnt_u32_b32 v3, v4, v3
	s_waitcnt lgkmcnt(0)
	v_add_u32_e32 v3, v10, v3
	ds_write_b32 v38, v3 offset:16
.LBB15_37:
	s_or_b64 exec, exec, s[24:25]
	v_xor_b32_e32 v45, -1, v6
	v_lshrrev_b32_sdwa v3, s68, v45 dst_sel:DWORD dst_unused:UNUSED_PAD src0_sel:DWORD src1_sel:WORD_0
	v_and_b32_e32 v5, s74, v3
	v_and_b32_e32 v4, 1, v5
	v_add_co_u32_e64 v40, s[24:25], -1, v4
	v_addc_co_u32_e64 v41, s[24:25], 0, -1, s[24:25]
	v_cmp_ne_u32_e64 s[24:25], 0, v4
	v_mad_u32_u24 v3, v5, 20, v25
	v_xor_b32_e32 v4, s25, v41
	; wave barrier
	ds_read_b32 v37, v3 offset:16
	v_mov_b32_e32 v3, 0
	v_and_b32_e32 v41, exec_hi, v4
	v_lshlrev_b32_e32 v4, 30, v5
	v_xor_b32_e32 v40, s24, v40
	v_cmp_gt_i64_e64 s[24:25], 0, v[3:4]
	v_not_b32_e32 v4, v4
	v_ashrrev_i32_e32 v4, 31, v4
	v_and_b32_e32 v40, exec_lo, v40
	v_xor_b32_e32 v42, s25, v4
	v_xor_b32_e32 v4, s24, v4
	v_and_b32_e32 v40, v40, v4
	v_lshlrev_b32_e32 v4, 29, v5
	v_cmp_gt_i64_e64 s[24:25], 0, v[3:4]
	v_not_b32_e32 v4, v4
	v_ashrrev_i32_e32 v4, 31, v4
	v_and_b32_e32 v41, v41, v42
	v_xor_b32_e32 v42, s25, v4
	v_xor_b32_e32 v4, s24, v4
	v_and_b32_e32 v40, v40, v4
	v_lshlrev_b32_e32 v4, 28, v5
	v_cmp_gt_i64_e64 s[24:25], 0, v[3:4]
	v_not_b32_e32 v4, v4
	v_ashrrev_i32_e32 v4, 31, v4
	v_and_b32_e32 v41, v41, v42
	;; [unrolled: 8-line block ×5, first 2 shown]
	v_xor_b32_e32 v42, s25, v4
	v_xor_b32_e32 v4, s24, v4
	v_and_b32_e32 v40, v40, v4
	v_lshlrev_b32_e32 v4, 24, v5
	v_cmp_gt_i64_e64 s[24:25], 0, v[3:4]
	v_not_b32_e32 v4, v4
	v_ashrrev_i32_e32 v4, 31, v4
	v_mul_u32_u24_e32 v39, 20, v5
	v_xor_b32_e32 v5, s25, v4
	v_xor_b32_e32 v4, s24, v4
	v_and_b32_e32 v41, v41, v42
	v_and_b32_e32 v4, v40, v4
	;; [unrolled: 1-line block ×3, first 2 shown]
	v_mbcnt_lo_u32_b32 v40, v4, 0
	v_mbcnt_hi_u32_b32 v47, v5, v40
	v_cmp_ne_u64_e64 s[24:25], 0, v[4:5]
	v_cmp_eq_u32_e64 s[26:27], 0, v47
	s_and_b64 s[26:27], s[24:25], s[26:27]
	v_add_u32_e32 v39, v25, v39
	; wave barrier
	s_and_saveexec_b64 s[24:25], s[26:27]
	s_cbranch_execz .LBB15_39
; %bb.38:
	v_bcnt_u32_b32 v4, v4, 0
	v_bcnt_u32_b32 v4, v5, v4
	s_waitcnt lgkmcnt(0)
	v_add_u32_e32 v4, v37, v4
	ds_write_b32 v39, v4 offset:16
.LBB15_39:
	s_or_b64 exec, exec, s[24:25]
	v_mov_b32_e32 v4, -1
	v_xor_b32_sdwa v46, v6, v4 dst_sel:DWORD dst_unused:UNUSED_PAD src0_sel:WORD_1 src1_sel:DWORD
	v_lshrrev_b32_sdwa v4, s68, v46 dst_sel:DWORD dst_unused:UNUSED_PAD src0_sel:DWORD src1_sel:WORD_0
	v_and_b32_e32 v5, s74, v4
	v_mad_u32_u24 v4, v5, 20, v25
	; wave barrier
	ds_read_b32 v48, v4 offset:16
	v_and_b32_e32 v4, 1, v5
	v_add_co_u32_e64 v40, s[24:25], -1, v4
	v_addc_co_u32_e64 v41, s[24:25], 0, -1, s[24:25]
	v_cmp_ne_u32_e64 s[24:25], 0, v4
	v_xor_b32_e32 v4, s25, v41
	v_and_b32_e32 v41, exec_hi, v4
	v_lshlrev_b32_e32 v4, 30, v5
	v_xor_b32_e32 v40, s24, v40
	v_cmp_gt_i64_e64 s[24:25], 0, v[3:4]
	v_not_b32_e32 v4, v4
	v_ashrrev_i32_e32 v4, 31, v4
	v_and_b32_e32 v40, exec_lo, v40
	v_xor_b32_e32 v42, s25, v4
	v_xor_b32_e32 v4, s24, v4
	v_and_b32_e32 v40, v40, v4
	v_lshlrev_b32_e32 v4, 29, v5
	v_cmp_gt_i64_e64 s[24:25], 0, v[3:4]
	v_not_b32_e32 v4, v4
	v_ashrrev_i32_e32 v4, 31, v4
	v_and_b32_e32 v41, v41, v42
	v_xor_b32_e32 v42, s25, v4
	v_xor_b32_e32 v4, s24, v4
	v_and_b32_e32 v40, v40, v4
	v_lshlrev_b32_e32 v4, 28, v5
	v_cmp_gt_i64_e64 s[24:25], 0, v[3:4]
	v_not_b32_e32 v4, v4
	v_ashrrev_i32_e32 v4, 31, v4
	v_and_b32_e32 v41, v41, v42
	v_xor_b32_e32 v42, s25, v4
	v_xor_b32_e32 v4, s24, v4
	v_and_b32_e32 v40, v40, v4
	v_lshlrev_b32_e32 v4, 27, v5
	v_cmp_gt_i64_e64 s[24:25], 0, v[3:4]
	v_not_b32_e32 v4, v4
	v_ashrrev_i32_e32 v4, 31, v4
	v_and_b32_e32 v41, v41, v42
	v_xor_b32_e32 v42, s25, v4
	v_xor_b32_e32 v4, s24, v4
	v_and_b32_e32 v40, v40, v4
	v_lshlrev_b32_e32 v4, 26, v5
	v_cmp_gt_i64_e64 s[24:25], 0, v[3:4]
	v_not_b32_e32 v4, v4
	v_ashrrev_i32_e32 v4, 31, v4
	v_and_b32_e32 v41, v41, v42
	v_xor_b32_e32 v42, s25, v4
	v_xor_b32_e32 v4, s24, v4
	v_and_b32_e32 v40, v40, v4
	v_lshlrev_b32_e32 v4, 25, v5
	v_cmp_gt_i64_e64 s[24:25], 0, v[3:4]
	v_not_b32_e32 v4, v4
	v_ashrrev_i32_e32 v4, 31, v4
	v_and_b32_e32 v41, v41, v42
	v_xor_b32_e32 v42, s25, v4
	v_xor_b32_e32 v4, s24, v4
	v_and_b32_e32 v40, v40, v4
	v_lshlrev_b32_e32 v4, 24, v5
	v_cmp_gt_i64_e64 s[24:25], 0, v[3:4]
	v_not_b32_e32 v3, v4
	v_ashrrev_i32_e32 v3, 31, v3
	v_xor_b32_e32 v4, s25, v3
	v_xor_b32_e32 v3, s24, v3
	v_and_b32_e32 v41, v41, v42
	v_and_b32_e32 v3, v40, v3
	v_mul_u32_u24_e32 v6, 20, v5
	v_and_b32_e32 v4, v41, v4
	v_mbcnt_lo_u32_b32 v5, v3, 0
	v_mbcnt_hi_u32_b32 v50, v4, v5
	v_cmp_ne_u64_e64 s[24:25], 0, v[3:4]
	v_cmp_eq_u32_e64 s[26:27], 0, v50
	s_and_b64 s[26:27], s[24:25], s[26:27]
	v_add_u32_e32 v40, v25, v6
	; wave barrier
	s_and_saveexec_b64 s[24:25], s[26:27]
	s_cbranch_execz .LBB15_41
; %bb.40:
	v_bcnt_u32_b32 v3, v3, 0
	v_bcnt_u32_b32 v3, v4, v3
	s_waitcnt lgkmcnt(0)
	v_add_u32_e32 v3, v48, v3
	ds_write_b32 v40, v3 offset:16
.LBB15_41:
	s_or_b64 exec, exec, s[24:25]
	v_xor_b32_e32 v49, -1, v7
	v_lshrrev_b32_sdwa v3, s68, v49 dst_sel:DWORD dst_unused:UNUSED_PAD src0_sel:DWORD src1_sel:WORD_0
	v_and_b32_e32 v5, s74, v3
	v_and_b32_e32 v4, 1, v5
	v_add_co_u32_e64 v41, s[24:25], -1, v4
	v_addc_co_u32_e64 v42, s[24:25], 0, -1, s[24:25]
	v_cmp_ne_u32_e64 s[24:25], 0, v4
	v_mad_u32_u24 v3, v5, 20, v25
	v_xor_b32_e32 v4, s25, v42
	; wave barrier
	ds_read_b32 v51, v3 offset:16
	v_mov_b32_e32 v3, 0
	v_and_b32_e32 v42, exec_hi, v4
	v_lshlrev_b32_e32 v4, 30, v5
	v_xor_b32_e32 v41, s24, v41
	v_cmp_gt_i64_e64 s[24:25], 0, v[3:4]
	v_not_b32_e32 v4, v4
	v_ashrrev_i32_e32 v4, 31, v4
	v_and_b32_e32 v41, exec_lo, v41
	v_xor_b32_e32 v43, s25, v4
	v_xor_b32_e32 v4, s24, v4
	v_and_b32_e32 v41, v41, v4
	v_lshlrev_b32_e32 v4, 29, v5
	v_cmp_gt_i64_e64 s[24:25], 0, v[3:4]
	v_not_b32_e32 v4, v4
	v_ashrrev_i32_e32 v4, 31, v4
	v_and_b32_e32 v42, v42, v43
	v_xor_b32_e32 v43, s25, v4
	v_xor_b32_e32 v4, s24, v4
	v_and_b32_e32 v41, v41, v4
	v_lshlrev_b32_e32 v4, 28, v5
	v_cmp_gt_i64_e64 s[24:25], 0, v[3:4]
	v_not_b32_e32 v4, v4
	v_ashrrev_i32_e32 v4, 31, v4
	v_and_b32_e32 v42, v42, v43
	;; [unrolled: 8-line block ×5, first 2 shown]
	v_xor_b32_e32 v43, s25, v4
	v_xor_b32_e32 v4, s24, v4
	v_and_b32_e32 v41, v41, v4
	v_lshlrev_b32_e32 v4, 24, v5
	v_cmp_gt_i64_e64 s[24:25], 0, v[3:4]
	v_not_b32_e32 v4, v4
	v_ashrrev_i32_e32 v4, 31, v4
	v_mul_u32_u24_e32 v6, 20, v5
	v_xor_b32_e32 v5, s25, v4
	v_xor_b32_e32 v4, s24, v4
	v_and_b32_e32 v42, v42, v43
	v_and_b32_e32 v4, v41, v4
	;; [unrolled: 1-line block ×3, first 2 shown]
	v_mbcnt_lo_u32_b32 v41, v4, 0
	v_mbcnt_hi_u32_b32 v52, v5, v41
	v_cmp_ne_u64_e64 s[24:25], 0, v[4:5]
	v_cmp_eq_u32_e64 s[26:27], 0, v52
	s_and_b64 s[26:27], s[24:25], s[26:27]
	v_add_u32_e32 v41, v25, v6
	; wave barrier
	s_and_saveexec_b64 s[24:25], s[26:27]
	s_cbranch_execz .LBB15_43
; %bb.42:
	v_bcnt_u32_b32 v4, v4, 0
	v_bcnt_u32_b32 v4, v5, v4
	s_waitcnt lgkmcnt(0)
	v_add_u32_e32 v4, v51, v4
	ds_write_b32 v41, v4 offset:16
.LBB15_43:
	s_or_b64 exec, exec, s[24:25]
	v_mov_b32_e32 v4, -1
	v_xor_b32_sdwa v7, v7, v4 dst_sel:DWORD dst_unused:UNUSED_PAD src0_sel:WORD_1 src1_sel:DWORD
	v_lshrrev_b32_sdwa v4, s68, v7 dst_sel:DWORD dst_unused:UNUSED_PAD src0_sel:DWORD src1_sel:WORD_0
	v_and_b32_e32 v5, s74, v4
	v_mad_u32_u24 v4, v5, 20, v25
	; wave barrier
	ds_read_b32 v53, v4 offset:16
	v_and_b32_e32 v4, 1, v5
	v_add_co_u32_e64 v42, s[24:25], -1, v4
	v_addc_co_u32_e64 v43, s[24:25], 0, -1, s[24:25]
	v_cmp_ne_u32_e64 s[24:25], 0, v4
	v_xor_b32_e32 v4, s25, v43
	v_and_b32_e32 v43, exec_hi, v4
	v_lshlrev_b32_e32 v4, 30, v5
	v_xor_b32_e32 v42, s24, v42
	v_cmp_gt_i64_e64 s[24:25], 0, v[3:4]
	v_not_b32_e32 v4, v4
	v_ashrrev_i32_e32 v4, 31, v4
	v_and_b32_e32 v42, exec_lo, v42
	v_xor_b32_e32 v44, s25, v4
	v_xor_b32_e32 v4, s24, v4
	v_and_b32_e32 v42, v42, v4
	v_lshlrev_b32_e32 v4, 29, v5
	v_cmp_gt_i64_e64 s[24:25], 0, v[3:4]
	v_not_b32_e32 v4, v4
	v_ashrrev_i32_e32 v4, 31, v4
	v_and_b32_e32 v43, v43, v44
	v_xor_b32_e32 v44, s25, v4
	v_xor_b32_e32 v4, s24, v4
	v_and_b32_e32 v42, v42, v4
	v_lshlrev_b32_e32 v4, 28, v5
	v_cmp_gt_i64_e64 s[24:25], 0, v[3:4]
	v_not_b32_e32 v4, v4
	v_ashrrev_i32_e32 v4, 31, v4
	v_and_b32_e32 v43, v43, v44
	;; [unrolled: 8-line block ×5, first 2 shown]
	v_xor_b32_e32 v44, s25, v4
	v_xor_b32_e32 v4, s24, v4
	v_and_b32_e32 v42, v42, v4
	v_lshlrev_b32_e32 v4, 24, v5
	v_cmp_gt_i64_e64 s[24:25], 0, v[3:4]
	v_not_b32_e32 v3, v4
	v_ashrrev_i32_e32 v3, 31, v3
	v_xor_b32_e32 v4, s25, v3
	v_xor_b32_e32 v3, s24, v3
	v_and_b32_e32 v43, v43, v44
	v_and_b32_e32 v3, v42, v3
	v_mul_u32_u24_e32 v6, 20, v5
	v_and_b32_e32 v4, v43, v4
	v_mbcnt_lo_u32_b32 v5, v3, 0
	v_mbcnt_hi_u32_b32 v55, v4, v5
	v_cmp_ne_u64_e64 s[24:25], 0, v[3:4]
	v_cmp_eq_u32_e64 s[26:27], 0, v55
	s_and_b64 s[26:27], s[24:25], s[26:27]
	v_add_u32_e32 v42, v25, v6
	; wave barrier
	s_and_saveexec_b64 s[24:25], s[26:27]
	s_cbranch_execz .LBB15_45
; %bb.44:
	v_bcnt_u32_b32 v3, v3, 0
	v_bcnt_u32_b32 v3, v4, v3
	s_waitcnt lgkmcnt(0)
	v_add_u32_e32 v3, v53, v3
	ds_write_b32 v42, v3 offset:16
.LBB15_45:
	s_or_b64 exec, exec, s[24:25]
	v_xor_b32_e32 v54, -1, v8
	v_lshrrev_b32_sdwa v3, s68, v54 dst_sel:DWORD dst_unused:UNUSED_PAD src0_sel:DWORD src1_sel:WORD_0
	v_and_b32_e32 v5, s74, v3
	v_and_b32_e32 v4, 1, v5
	v_add_co_u32_e64 v43, s[24:25], -1, v4
	v_addc_co_u32_e64 v44, s[24:25], 0, -1, s[24:25]
	v_cmp_ne_u32_e64 s[24:25], 0, v4
	v_mad_u32_u24 v3, v5, 20, v25
	v_xor_b32_e32 v4, s25, v44
	; wave barrier
	ds_read_b32 v56, v3 offset:16
	v_mov_b32_e32 v3, 0
	v_and_b32_e32 v44, exec_hi, v4
	v_lshlrev_b32_e32 v4, 30, v5
	v_xor_b32_e32 v43, s24, v43
	v_cmp_gt_i64_e64 s[24:25], 0, v[3:4]
	v_not_b32_e32 v4, v4
	v_ashrrev_i32_e32 v4, 31, v4
	v_and_b32_e32 v43, exec_lo, v43
	v_xor_b32_e32 v57, s25, v4
	v_xor_b32_e32 v4, s24, v4
	v_and_b32_e32 v43, v43, v4
	v_lshlrev_b32_e32 v4, 29, v5
	v_cmp_gt_i64_e64 s[24:25], 0, v[3:4]
	v_not_b32_e32 v4, v4
	v_ashrrev_i32_e32 v4, 31, v4
	v_and_b32_e32 v44, v44, v57
	v_xor_b32_e32 v57, s25, v4
	v_xor_b32_e32 v4, s24, v4
	v_and_b32_e32 v43, v43, v4
	v_lshlrev_b32_e32 v4, 28, v5
	v_cmp_gt_i64_e64 s[24:25], 0, v[3:4]
	v_not_b32_e32 v4, v4
	v_ashrrev_i32_e32 v4, 31, v4
	v_and_b32_e32 v44, v44, v57
	;; [unrolled: 8-line block ×5, first 2 shown]
	v_xor_b32_e32 v57, s25, v4
	v_xor_b32_e32 v4, s24, v4
	v_and_b32_e32 v43, v43, v4
	v_lshlrev_b32_e32 v4, 24, v5
	v_cmp_gt_i64_e64 s[24:25], 0, v[3:4]
	v_not_b32_e32 v4, v4
	v_ashrrev_i32_e32 v4, 31, v4
	v_mul_u32_u24_e32 v6, 20, v5
	v_xor_b32_e32 v5, s25, v4
	v_xor_b32_e32 v4, s24, v4
	v_and_b32_e32 v44, v44, v57
	v_and_b32_e32 v4, v43, v4
	;; [unrolled: 1-line block ×3, first 2 shown]
	v_mbcnt_lo_u32_b32 v43, v4, 0
	v_mbcnt_hi_u32_b32 v57, v5, v43
	v_cmp_ne_u64_e64 s[24:25], 0, v[4:5]
	v_cmp_eq_u32_e64 s[26:27], 0, v57
	s_and_b64 s[26:27], s[24:25], s[26:27]
	v_add_u32_e32 v43, v25, v6
	; wave barrier
	s_and_saveexec_b64 s[24:25], s[26:27]
	s_cbranch_execz .LBB15_47
; %bb.46:
	v_bcnt_u32_b32 v4, v4, 0
	v_bcnt_u32_b32 v4, v5, v4
	s_waitcnt lgkmcnt(0)
	v_add_u32_e32 v4, v56, v4
	ds_write_b32 v43, v4 offset:16
.LBB15_47:
	s_or_b64 exec, exec, s[24:25]
	v_mov_b32_e32 v4, -1
	v_xor_b32_sdwa v8, v8, v4 dst_sel:DWORD dst_unused:UNUSED_PAD src0_sel:WORD_1 src1_sel:DWORD
	v_lshrrev_b32_sdwa v4, s68, v8 dst_sel:DWORD dst_unused:UNUSED_PAD src0_sel:DWORD src1_sel:WORD_0
	v_and_b32_e32 v5, s74, v4
	v_mad_u32_u24 v4, v5, 20, v25
	; wave barrier
	ds_read_b32 v58, v4 offset:16
	v_and_b32_e32 v4, 1, v5
	v_add_co_u32_e64 v44, s[24:25], -1, v4
	v_addc_co_u32_e64 v59, s[24:25], 0, -1, s[24:25]
	v_cmp_ne_u32_e64 s[24:25], 0, v4
	v_xor_b32_e32 v4, s25, v59
	v_and_b32_e32 v59, exec_hi, v4
	v_lshlrev_b32_e32 v4, 30, v5
	v_xor_b32_e32 v44, s24, v44
	v_cmp_gt_i64_e64 s[24:25], 0, v[3:4]
	v_not_b32_e32 v4, v4
	v_ashrrev_i32_e32 v4, 31, v4
	v_and_b32_e32 v44, exec_lo, v44
	v_xor_b32_e32 v60, s25, v4
	v_xor_b32_e32 v4, s24, v4
	v_and_b32_e32 v44, v44, v4
	v_lshlrev_b32_e32 v4, 29, v5
	v_cmp_gt_i64_e64 s[24:25], 0, v[3:4]
	v_not_b32_e32 v4, v4
	v_ashrrev_i32_e32 v4, 31, v4
	v_and_b32_e32 v59, v59, v60
	v_xor_b32_e32 v60, s25, v4
	v_xor_b32_e32 v4, s24, v4
	v_and_b32_e32 v44, v44, v4
	v_lshlrev_b32_e32 v4, 28, v5
	v_cmp_gt_i64_e64 s[24:25], 0, v[3:4]
	v_not_b32_e32 v4, v4
	v_ashrrev_i32_e32 v4, 31, v4
	v_and_b32_e32 v59, v59, v60
	;; [unrolled: 8-line block ×5, first 2 shown]
	v_xor_b32_e32 v60, s25, v4
	v_xor_b32_e32 v4, s24, v4
	v_and_b32_e32 v44, v44, v4
	v_lshlrev_b32_e32 v4, 24, v5
	v_cmp_gt_i64_e64 s[24:25], 0, v[3:4]
	v_not_b32_e32 v3, v4
	v_ashrrev_i32_e32 v3, 31, v3
	v_xor_b32_e32 v4, s25, v3
	v_xor_b32_e32 v3, s24, v3
	v_and_b32_e32 v59, v59, v60
	v_and_b32_e32 v3, v44, v3
	v_mul_u32_u24_e32 v6, 20, v5
	v_and_b32_e32 v4, v59, v4
	v_mbcnt_lo_u32_b32 v5, v3, 0
	v_mbcnt_hi_u32_b32 v59, v4, v5
	v_cmp_ne_u64_e64 s[24:25], 0, v[3:4]
	v_cmp_eq_u32_e64 s[26:27], 0, v59
	s_and_b64 s[26:27], s[24:25], s[26:27]
	v_add_u32_e32 v25, v25, v6
	; wave barrier
	s_and_saveexec_b64 s[24:25], s[26:27]
	s_cbranch_execz .LBB15_49
; %bb.48:
	v_bcnt_u32_b32 v3, v3, 0
	v_bcnt_u32_b32 v3, v4, v3
	s_waitcnt lgkmcnt(0)
	v_add_u32_e32 v3, v58, v3
	ds_write_b32 v25, v3 offset:16
.LBB15_49:
	s_or_b64 exec, exec, s[24:25]
	; wave barrier
	s_waitcnt lgkmcnt(0)
	s_barrier
	ds_read2_b32 v[5:6], v16 offset0:4 offset1:5
	ds_read2_b32 v[3:4], v16 offset0:6 offset1:7
	ds_read_b32 v44, v16 offset:32
	v_min_u32_e32 v15, 0xc0, v15
	v_or_b32_e32 v15, 63, v15
	s_waitcnt lgkmcnt(1)
	v_add3_u32 v60, v6, v5, v3
	s_waitcnt lgkmcnt(0)
	v_add3_u32 v44, v60, v4, v44
	v_and_b32_e32 v60, 15, v13
	v_cmp_ne_u32_e64 s[24:25], 0, v60
	v_mov_b32_dpp v61, v44 row_shr:1 row_mask:0xf bank_mask:0xf
	v_cndmask_b32_e64 v61, 0, v61, s[24:25]
	v_add_u32_e32 v44, v61, v44
	v_cmp_lt_u32_e64 s[24:25], 1, v60
	s_nop 0
	v_mov_b32_dpp v61, v44 row_shr:2 row_mask:0xf bank_mask:0xf
	v_cndmask_b32_e64 v61, 0, v61, s[24:25]
	v_add_u32_e32 v44, v44, v61
	v_cmp_lt_u32_e64 s[24:25], 3, v60
	s_nop 0
	;; [unrolled: 5-line block ×3, first 2 shown]
	v_mov_b32_dpp v61, v44 row_shr:8 row_mask:0xf bank_mask:0xf
	v_cndmask_b32_e64 v60, 0, v61, s[24:25]
	v_add_u32_e32 v44, v44, v60
	v_bfe_i32 v61, v13, 4, 1
	v_cmp_lt_u32_e64 s[24:25], 31, v13
	v_mov_b32_dpp v60, v44 row_bcast:15 row_mask:0xf bank_mask:0xf
	v_and_b32_e32 v60, v61, v60
	v_add_u32_e32 v44, v44, v60
	s_nop 1
	v_mov_b32_dpp v60, v44 row_bcast:31 row_mask:0xf bank_mask:0xf
	v_cndmask_b32_e64 v60, 0, v60, s[24:25]
	v_add_u32_e32 v44, v44, v60
	v_lshrrev_b32_e32 v60, 6, v0
	v_cmp_eq_u32_e64 s[24:25], v0, v15
	s_and_saveexec_b64 s[26:27], s[24:25]
; %bb.50:
	v_lshlrev_b32_e32 v15, 2, v60
	ds_write_b32 v15, v44
; %bb.51:
	s_or_b64 exec, exec, s[26:27]
	v_cmp_gt_u32_e64 s[24:25], 4, v0
	s_waitcnt lgkmcnt(0)
	s_barrier
	s_and_saveexec_b64 s[26:27], s[24:25]
	s_cbranch_execz .LBB15_53
; %bb.52:
	v_lshlrev_b32_e32 v15, 2, v0
	ds_read_b32 v61, v15
	v_and_b32_e32 v62, 3, v13
	v_cmp_ne_u32_e64 s[24:25], 0, v62
	s_waitcnt lgkmcnt(0)
	v_mov_b32_dpp v63, v61 row_shr:1 row_mask:0xf bank_mask:0xf
	v_cndmask_b32_e64 v63, 0, v63, s[24:25]
	v_add_u32_e32 v61, v63, v61
	v_cmp_lt_u32_e64 s[24:25], 1, v62
	s_nop 0
	v_mov_b32_dpp v63, v61 row_shr:2 row_mask:0xf bank_mask:0xf
	v_cndmask_b32_e64 v62, 0, v63, s[24:25]
	v_add_u32_e32 v61, v61, v62
	ds_write_b32 v15, v61
.LBB15_53:
	s_or_b64 exec, exec, s[26:27]
	v_cmp_lt_u32_e64 s[24:25], 63, v0
	v_mov_b32_e32 v15, 0
	s_waitcnt lgkmcnt(0)
	s_barrier
	s_and_saveexec_b64 s[26:27], s[24:25]
; %bb.54:
	v_lshl_add_u32 v15, v60, 2, -4
	ds_read_b32 v15, v15
; %bb.55:
	s_or_b64 exec, exec, s[26:27]
	v_add_u32_e32 v60, -1, v13
	v_and_b32_e32 v61, 64, v13
	v_cmp_lt_i32_e64 s[24:25], v60, v61
	v_cndmask_b32_e64 v60, v60, v13, s[24:25]
	s_waitcnt lgkmcnt(0)
	v_add_u32_e32 v44, v15, v44
	v_lshlrev_b32_e32 v60, 2, v60
	ds_bpermute_b32 v44, v60, v44
	v_cmp_eq_u32_e64 s[24:25], 0, v13
	s_waitcnt lgkmcnt(0)
	v_cndmask_b32_e64 v15, v44, v15, s[24:25]
	v_cmp_ne_u32_e64 s[24:25], 0, v0
	v_cndmask_b32_e64 v15, 0, v15, s[24:25]
	v_add_u32_e32 v5, v15, v5
	v_add_u32_e32 v6, v5, v6
	;; [unrolled: 1-line block ×4, first 2 shown]
	ds_write2_b32 v16, v15, v5 offset0:4 offset1:5
	ds_write2_b32 v16, v6, v3 offset0:6 offset1:7
	ds_write_b32 v16, v4 offset:32
	s_waitcnt lgkmcnt(0)
	s_barrier
	ds_read_b32 v4, v20 offset:16
	ds_read_b32 v5, v24 offset:16
	;; [unrolled: 1-line block ×13, first 2 shown]
	v_add_u32_e32 v16, 1, v0
	s_movk_i32 s24, 0x100
	v_cmp_ne_u32_e64 s[24:25], s24, v16
	v_mov_b32_e32 v3, 0xc00
	s_and_saveexec_b64 s[26:27], s[24:25]
; %bb.56:
	v_mul_u32_u24_e32 v3, 20, v16
	ds_read_b32 v3, v3 offset:16
; %bb.57:
	s_or_b64 exec, exec, s[26:27]
	s_waitcnt lgkmcnt(12)
	v_add_u32_e32 v44, v4, v17
	s_waitcnt lgkmcnt(11)
	v_add3_u32 v43, v22, v19, v5
	v_lshlrev_b32_e32 v4, 1, v44
	s_waitcnt lgkmcnt(10)
	v_add3_u32 v42, v26, v23, v6
	s_waitcnt lgkmcnt(0)
	s_barrier
	ds_write_b16 v4, v12 offset:2048
	v_lshlrev_b32_e32 v4, 1, v43
	v_add3_u32 v41, v32, v27, v15
	ds_write_b16 v4, v18 offset:2048
	v_lshlrev_b32_e32 v4, 1, v42
	v_add3_u32 v40, v34, v33, v20
	;; [unrolled: 3-line block ×9, first 2 shown]
	ds_write_b16 v4, v7 offset:2048
	v_lshlrev_b32_e32 v4, 1, v34
	ds_write_b16 v4, v54 offset:2048
	v_lshlrev_b32_e32 v4, 1, v33
	ds_write_b16 v4, v8 offset:2048
	v_sub_u32_e32 v31, v3, v30
	v_lshl_or_b32 v3, s6, 8, v0
	v_mov_b32_e32 v4, 0
	v_lshlrev_b64 v[5:6], 2, v[3:4]
	v_mov_b32_e32 v9, s73
	v_add_co_u32_e64 v5, s[24:25], s72, v5
	v_addc_co_u32_e64 v6, s[24:25], v9, v6, s[24:25]
	v_or_b32_e32 v3, 2.0, v31
	s_mov_b64 s[26:27], 0
	s_brev_b32 s34, -4
	s_mov_b32 s35, s7
	v_mov_b32_e32 v10, 0
	s_waitcnt lgkmcnt(0)
	s_barrier
	global_store_dword v[5:6], v3, off
                                        ; implicit-def: $sgpr24_sgpr25
	s_branch .LBB15_60
.LBB15_58:                              ;   in Loop: Header=BB15_60 Depth=1
	s_or_b64 exec, exec, s[30:31]
.LBB15_59:                              ;   in Loop: Header=BB15_60 Depth=1
	s_or_b64 exec, exec, s[28:29]
	v_and_b32_e32 v7, 0x3fffffff, v3
	v_add_u32_e32 v10, v7, v10
	v_cmp_gt_i32_e64 s[24:25], -2.0, v3
	s_and_b64 s[28:29], exec, s[24:25]
	s_or_b64 s[26:27], s[28:29], s[26:27]
	s_andn2_b64 exec, exec, s[26:27]
	s_cbranch_execz .LBB15_65
.LBB15_60:                              ; =>This Loop Header: Depth=1
                                        ;     Child Loop BB15_63 Depth 2
	s_or_b64 s[24:25], s[24:25], exec
	s_cmp_eq_u32 s35, 0
	s_cbranch_scc1 .LBB15_64
; %bb.61:                               ;   in Loop: Header=BB15_60 Depth=1
	s_add_i32 s35, s35, -1
	v_lshl_or_b32 v3, s35, 8, v0
	v_lshlrev_b64 v[7:8], 2, v[3:4]
	v_add_co_u32_e64 v7, s[24:25], s72, v7
	v_addc_co_u32_e64 v8, s[24:25], v9, v8, s[24:25]
	global_load_dword v3, v[7:8], off glc
	s_waitcnt vmcnt(0)
	v_cmp_gt_u32_e64 s[24:25], 2.0, v3
	s_and_saveexec_b64 s[28:29], s[24:25]
	s_cbranch_execz .LBB15_59
; %bb.62:                               ;   in Loop: Header=BB15_60 Depth=1
	s_mov_b64 s[30:31], 0
.LBB15_63:                              ;   Parent Loop BB15_60 Depth=1
                                        ; =>  This Inner Loop Header: Depth=2
	global_load_dword v3, v[7:8], off glc
	s_waitcnt vmcnt(0)
	v_cmp_lt_u32_e64 s[24:25], s34, v3
	s_or_b64 s[30:31], s[24:25], s[30:31]
	s_andn2_b64 exec, exec, s[30:31]
	s_cbranch_execnz .LBB15_63
	s_branch .LBB15_58
.LBB15_64:                              ;   in Loop: Header=BB15_60 Depth=1
                                        ; implicit-def: $sgpr35
	s_and_b64 s[28:29], exec, s[24:25]
	s_or_b64 s[26:27], s[28:29], s[26:27]
	s_andn2_b64 exec, exec, s[26:27]
	s_cbranch_execnz .LBB15_60
.LBB15_65:
	s_or_b64 exec, exec, s[26:27]
	v_add_u32_e32 v3, v10, v31
	v_or_b32_e32 v3, 0x80000000, v3
	v_lshlrev_b32_e32 v32, 3, v0
	global_store_dword v[5:6], v3, off
	global_load_dwordx2 v[3:4], v32, s[64:65]
	v_sub_co_u32_e64 v5, s[24:25], v10, v30
	v_subb_co_u32_e64 v6, s[24:25], 0, 0, s[24:25]
	s_waitcnt vmcnt(0)
	v_add_co_u32_e64 v3, s[24:25], v5, v3
	v_addc_co_u32_e64 v4, s[24:25], v6, v4, s[24:25]
	v_cmp_gt_u32_e64 s[24:25], s70, v0
	ds_write_b64 v32, v[3:4]
	s_waitcnt lgkmcnt(0)
	s_barrier
	s_and_saveexec_b64 s[28:29], s[24:25]
	s_cbranch_execz .LBB15_67
; %bb.66:
	v_mad_i32_i24 v3, v0, -6, v32
	ds_read_u16 v5, v3 offset:2048
	v_mov_b32_e32 v6, s59
	v_lshlrev_b32_e32 v7, 1, v0
	s_waitcnt lgkmcnt(0)
	v_lshrrev_b32_sdwa v3, s68, v5 dst_sel:DWORD dst_unused:UNUSED_PAD src0_sel:DWORD src1_sel:WORD_0
	v_and_b32_e32 v3, s74, v3
	v_lshlrev_b32_e32 v3, 3, v3
	ds_read_b64 v[3:4], v3
	v_xor_b32_e32 v5, -1, v5
	s_waitcnt lgkmcnt(0)
	v_lshlrev_b64 v[3:4], 1, v[3:4]
	v_add_co_u32_e64 v3, s[26:27], s58, v3
	v_addc_co_u32_e64 v4, s[26:27], v6, v4, s[26:27]
	v_add_co_u32_e64 v3, s[26:27], v3, v7
	v_addc_co_u32_e64 v4, s[26:27], 0, v4, s[26:27]
	global_store_short v[3:4], v5, off
.LBB15_67:
	s_or_b64 exec, exec, s[28:29]
	v_or_b32_e32 v3, 0x100, v0
	v_cmp_gt_u32_e64 s[26:27], s70, v3
	s_and_saveexec_b64 s[30:31], s[26:27]
	s_cbranch_execz .LBB15_69
; %bb.68:
	v_mad_i32_i24 v3, v0, -6, v32
	ds_read_u16 v5, v3 offset:2560
	v_mov_b32_e32 v6, s59
	v_lshlrev_b32_e32 v7, 1, v0
	s_waitcnt lgkmcnt(0)
	v_lshrrev_b32_sdwa v3, s68, v5 dst_sel:DWORD dst_unused:UNUSED_PAD src0_sel:DWORD src1_sel:WORD_0
	v_and_b32_e32 v3, s74, v3
	v_lshlrev_b32_e32 v3, 3, v3
	ds_read_b64 v[3:4], v3
	v_xor_b32_e32 v5, -1, v5
	s_waitcnt lgkmcnt(0)
	v_lshlrev_b64 v[3:4], 1, v[3:4]
	v_add_co_u32_e64 v3, s[28:29], s58, v3
	v_addc_co_u32_e64 v4, s[28:29], v6, v4, s[28:29]
	v_add_co_u32_e64 v3, s[28:29], v3, v7
	v_addc_co_u32_e64 v4, s[28:29], 0, v4, s[28:29]
	global_store_short v[3:4], v5, off offset:512
.LBB15_69:
	s_or_b64 exec, exec, s[30:31]
	v_or_b32_e32 v45, 0x200, v0
	v_cmp_gt_u32_e64 s[28:29], s70, v45
	s_and_saveexec_b64 s[34:35], s[28:29]
	s_cbranch_execz .LBB15_71
; %bb.70:
	v_mad_i32_i24 v3, v0, -6, v32
	ds_read_u16 v5, v3 offset:3072
	v_mov_b32_e32 v6, s59
	v_lshlrev_b32_e32 v7, 1, v0
	s_waitcnt lgkmcnt(0)
	v_lshrrev_b32_sdwa v3, s68, v5 dst_sel:DWORD dst_unused:UNUSED_PAD src0_sel:DWORD src1_sel:WORD_0
	v_and_b32_e32 v3, s74, v3
	v_lshlrev_b32_e32 v3, 3, v3
	ds_read_b64 v[3:4], v3
	v_xor_b32_e32 v5, -1, v5
	s_waitcnt lgkmcnt(0)
	v_lshlrev_b64 v[3:4], 1, v[3:4]
	v_add_co_u32_e64 v3, s[30:31], s58, v3
	v_addc_co_u32_e64 v4, s[30:31], v6, v4, s[30:31]
	v_add_co_u32_e64 v3, s[30:31], v3, v7
	v_addc_co_u32_e64 v4, s[30:31], 0, v4, s[30:31]
	global_store_short v[3:4], v5, off offset:1024
.LBB15_71:
	;; [unrolled: 24-line block ×6, first 2 shown]
	s_or_b64 exec, exec, s[42:43]
	v_or_b32_e32 v50, 0x700, v0
	v_cmp_gt_u32_e64 s[40:41], s70, v50
	s_and_saveexec_b64 s[44:45], s[40:41]
	s_cbranch_execz .LBB15_81
; %bb.80:
	v_lshlrev_b32_e32 v5, 1, v0
	ds_read_u16 v6, v5 offset:5632
	v_mov_b32_e32 v7, s59
	s_waitcnt lgkmcnt(0)
	v_lshrrev_b32_sdwa v3, s68, v6 dst_sel:DWORD dst_unused:UNUSED_PAD src0_sel:DWORD src1_sel:WORD_0
	v_and_b32_e32 v3, s74, v3
	v_lshlrev_b32_e32 v3, 3, v3
	ds_read_b64 v[3:4], v3
	v_xor_b32_e32 v6, -1, v6
	s_waitcnt lgkmcnt(0)
	v_lshlrev_b64 v[3:4], 1, v[3:4]
	v_add_co_u32_e64 v3, s[42:43], s58, v3
	v_addc_co_u32_e64 v4, s[42:43], v7, v4, s[42:43]
	v_add_co_u32_e64 v3, s[42:43], v3, v5
	v_addc_co_u32_e64 v4, s[42:43], 0, v4, s[42:43]
	global_store_short v[3:4], v6, off offset:3584
.LBB15_81:
	s_or_b64 exec, exec, s[44:45]
	v_or_b32_e32 v51, 0x800, v0
	v_cmp_gt_u32_e64 s[42:43], s70, v51
	s_and_saveexec_b64 s[46:47], s[42:43]
	s_cbranch_execz .LBB15_83
; %bb.82:
	v_lshlrev_b32_e32 v3, 1, v0
	ds_read_u16 v5, v3 offset:6144
	v_mov_b32_e32 v6, s59
	v_lshlrev_b32_e32 v7, 1, v51
	s_waitcnt lgkmcnt(0)
	v_lshrrev_b32_sdwa v3, s68, v5 dst_sel:DWORD dst_unused:UNUSED_PAD src0_sel:DWORD src1_sel:WORD_0
	v_and_b32_e32 v3, s74, v3
	v_lshlrev_b32_e32 v3, 3, v3
	ds_read_b64 v[3:4], v3
	v_xor_b32_e32 v5, -1, v5
	s_waitcnt lgkmcnt(0)
	v_lshlrev_b64 v[3:4], 1, v[3:4]
	v_add_co_u32_e64 v3, s[44:45], s58, v3
	v_addc_co_u32_e64 v4, s[44:45], v6, v4, s[44:45]
	v_add_co_u32_e64 v3, s[44:45], v3, v7
	v_addc_co_u32_e64 v4, s[44:45], 0, v4, s[44:45]
	global_store_short v[3:4], v5, off
.LBB15_83:
	s_or_b64 exec, exec, s[46:47]
	v_or_b32_e32 v52, 0x900, v0
	v_cmp_gt_u32_e64 s[44:45], s70, v52
	s_and_saveexec_b64 s[48:49], s[44:45]
	s_cbranch_execz .LBB15_85
; %bb.84:
	v_lshlrev_b32_e32 v3, 1, v0
	ds_read_u16 v5, v3 offset:6656
	v_mov_b32_e32 v6, s59
	v_lshlrev_b32_e32 v7, 1, v52
	s_waitcnt lgkmcnt(0)
	v_lshrrev_b32_sdwa v3, s68, v5 dst_sel:DWORD dst_unused:UNUSED_PAD src0_sel:DWORD src1_sel:WORD_0
	v_and_b32_e32 v3, s74, v3
	v_lshlrev_b32_e32 v3, 3, v3
	ds_read_b64 v[3:4], v3
	v_xor_b32_e32 v5, -1, v5
	s_waitcnt lgkmcnt(0)
	v_lshlrev_b64 v[3:4], 1, v[3:4]
	v_add_co_u32_e64 v3, s[46:47], s58, v3
	v_addc_co_u32_e64 v4, s[46:47], v6, v4, s[46:47]
	v_add_co_u32_e64 v3, s[46:47], v3, v7
	v_addc_co_u32_e64 v4, s[46:47], 0, v4, s[46:47]
	global_store_short v[3:4], v5, off
.LBB15_85:
	;; [unrolled: 24-line block ×4, first 2 shown]
	s_or_b64 exec, exec, s[70:71]
	s_lshl_b64 s[52:53], s[54:55], 3
	s_add_u32 s52, s60, s52
	s_addc_u32 s53, s61, s53
	v_lshlrev_b32_e32 v3, 3, v13
	v_mov_b32_e32 v4, s53
	v_add_co_u32_e64 v3, s[52:53], s52, v3
	v_addc_co_u32_e64 v4, s[52:53], 0, v4, s[52:53]
	v_lshlrev_b32_e32 v5, 3, v14
	v_add_co_u32_e64 v27, s[52:53], v3, v5
	v_addc_co_u32_e64 v28, s[52:53], 0, v4, s[52:53]
                                        ; implicit-def: $vgpr3_vgpr4
	s_and_saveexec_b64 s[52:53], vcc
	s_xor_b64 s[52:53], exec, s[52:53]
	s_cbranch_execz .LBB15_101
; %bb.90:
	global_load_dwordx2 v[3:4], v[27:28], off
	s_or_b64 exec, exec, s[52:53]
                                        ; implicit-def: $vgpr5_vgpr6
	s_and_saveexec_b64 s[52:53], s[0:1]
	s_cbranch_execnz .LBB15_102
.LBB15_91:
	s_or_b64 exec, exec, s[52:53]
                                        ; implicit-def: $vgpr7_vgpr8
	s_and_saveexec_b64 s[0:1], s[2:3]
	s_cbranch_execz .LBB15_103
.LBB15_92:
	global_load_dwordx2 v[7:8], v[27:28], off offset:1024
	s_or_b64 exec, exec, s[0:1]
                                        ; implicit-def: $vgpr9_vgpr10
	s_and_saveexec_b64 s[0:1], s[50:51]
	s_cbranch_execnz .LBB15_104
.LBB15_93:
	s_or_b64 exec, exec, s[0:1]
                                        ; implicit-def: $vgpr11_vgpr12
	s_and_saveexec_b64 s[0:1], s[8:9]
	s_cbranch_execz .LBB15_105
.LBB15_94:
	global_load_dwordx2 v[11:12], v[27:28], off offset:2048
	s_or_b64 exec, exec, s[0:1]
                                        ; implicit-def: $vgpr13_vgpr14
	s_and_saveexec_b64 s[0:1], s[10:11]
	s_cbranch_execnz .LBB15_106
.LBB15_95:
	s_or_b64 exec, exec, s[0:1]
                                        ; implicit-def: $vgpr15_vgpr16
	s_and_saveexec_b64 s[0:1], s[12:13]
	s_cbranch_execz .LBB15_107
.LBB15_96:
	global_load_dwordx2 v[15:16], v[27:28], off offset:3072
	s_or_b64 exec, exec, s[0:1]
                                        ; implicit-def: $vgpr17_vgpr18
	s_and_saveexec_b64 s[0:1], s[14:15]
	s_cbranch_execnz .LBB15_108
.LBB15_97:
	s_or_b64 exec, exec, s[0:1]
                                        ; implicit-def: $vgpr19_vgpr20
	s_and_saveexec_b64 s[0:1], s[16:17]
	s_cbranch_execz .LBB15_109
.LBB15_98:
	v_add_co_u32_e32 v19, vcc, 0x1000, v27
	v_addc_co_u32_e32 v20, vcc, 0, v28, vcc
	global_load_dwordx2 v[19:20], v[19:20], off
	s_or_b64 exec, exec, s[0:1]
                                        ; implicit-def: $vgpr21_vgpr22
	s_and_saveexec_b64 s[0:1], s[18:19]
	s_cbranch_execnz .LBB15_110
.LBB15_99:
	s_or_b64 exec, exec, s[0:1]
                                        ; implicit-def: $vgpr23_vgpr24
	s_and_saveexec_b64 s[0:1], s[20:21]
	s_cbranch_execz .LBB15_111
.LBB15_100:
	v_add_co_u32_e32 v23, vcc, 0x1000, v27
	v_addc_co_u32_e32 v24, vcc, 0, v28, vcc
	global_load_dwordx2 v[23:24], v[23:24], off offset:1024
	s_or_b64 exec, exec, s[0:1]
                                        ; implicit-def: $vgpr25_vgpr26
	s_and_saveexec_b64 s[0:1], s[22:23]
	s_cbranch_execnz .LBB15_112
	s_branch .LBB15_113
.LBB15_101:
	s_or_b64 exec, exec, s[52:53]
                                        ; implicit-def: $vgpr5_vgpr6
	s_and_saveexec_b64 s[52:53], s[0:1]
	s_cbranch_execz .LBB15_91
.LBB15_102:
	global_load_dwordx2 v[5:6], v[27:28], off offset:512
	s_or_b64 exec, exec, s[52:53]
                                        ; implicit-def: $vgpr7_vgpr8
	s_and_saveexec_b64 s[0:1], s[2:3]
	s_cbranch_execnz .LBB15_92
.LBB15_103:
	s_or_b64 exec, exec, s[0:1]
                                        ; implicit-def: $vgpr9_vgpr10
	s_and_saveexec_b64 s[0:1], s[50:51]
	s_cbranch_execz .LBB15_93
.LBB15_104:
	global_load_dwordx2 v[9:10], v[27:28], off offset:1536
	s_or_b64 exec, exec, s[0:1]
                                        ; implicit-def: $vgpr11_vgpr12
	s_and_saveexec_b64 s[0:1], s[8:9]
	s_cbranch_execnz .LBB15_94
.LBB15_105:
	s_or_b64 exec, exec, s[0:1]
                                        ; implicit-def: $vgpr13_vgpr14
	s_and_saveexec_b64 s[0:1], s[10:11]
	s_cbranch_execz .LBB15_95
.LBB15_106:
	global_load_dwordx2 v[13:14], v[27:28], off offset:2560
	s_or_b64 exec, exec, s[0:1]
                                        ; implicit-def: $vgpr15_vgpr16
	s_and_saveexec_b64 s[0:1], s[12:13]
	s_cbranch_execnz .LBB15_96
.LBB15_107:
	s_or_b64 exec, exec, s[0:1]
                                        ; implicit-def: $vgpr17_vgpr18
	s_and_saveexec_b64 s[0:1], s[14:15]
	s_cbranch_execz .LBB15_97
.LBB15_108:
	global_load_dwordx2 v[17:18], v[27:28], off offset:3584
	s_or_b64 exec, exec, s[0:1]
                                        ; implicit-def: $vgpr19_vgpr20
	s_and_saveexec_b64 s[0:1], s[16:17]
	s_cbranch_execnz .LBB15_98
.LBB15_109:
	s_or_b64 exec, exec, s[0:1]
                                        ; implicit-def: $vgpr21_vgpr22
	s_and_saveexec_b64 s[0:1], s[18:19]
	s_cbranch_execz .LBB15_99
.LBB15_110:
	v_add_co_u32_e32 v21, vcc, 0x1000, v27
	v_addc_co_u32_e32 v22, vcc, 0, v28, vcc
	global_load_dwordx2 v[21:22], v[21:22], off offset:512
	s_or_b64 exec, exec, s[0:1]
                                        ; implicit-def: $vgpr23_vgpr24
	s_and_saveexec_b64 s[0:1], s[20:21]
	s_cbranch_execnz .LBB15_100
.LBB15_111:
	s_or_b64 exec, exec, s[0:1]
                                        ; implicit-def: $vgpr25_vgpr26
	s_and_saveexec_b64 s[0:1], s[22:23]
	s_cbranch_execz .LBB15_113
.LBB15_112:
	v_add_co_u32_e32 v25, vcc, 0x1000, v27
	v_addc_co_u32_e32 v26, vcc, 0, v28, vcc
	global_load_dwordx2 v[25:26], v[25:26], off offset:1536
.LBB15_113:
	s_or_b64 exec, exec, s[0:1]
	v_mov_b32_e32 v62, 0
	v_mov_b32_e32 v64, 0
	s_and_saveexec_b64 s[0:1], s[24:25]
	s_cbranch_execz .LBB15_115
; %bb.114:
	v_lshlrev_b32_e32 v27, 1, v0
	ds_read_u16 v27, v27 offset:2048
	s_waitcnt lgkmcnt(0)
	v_lshrrev_b32_e32 v27, s68, v27
	v_and_b32_e32 v64, s74, v27
.LBB15_115:
	s_or_b64 exec, exec, s[0:1]
	s_and_saveexec_b64 s[0:1], s[26:27]
	s_cbranch_execz .LBB15_117
; %bb.116:
	v_lshlrev_b32_e32 v27, 1, v0
	ds_read_u16 v27, v27 offset:2560
	s_waitcnt lgkmcnt(0)
	v_lshrrev_b32_e32 v27, s68, v27
	v_and_b32_e32 v62, s74, v27
.LBB15_117:
	s_or_b64 exec, exec, s[0:1]
	v_mov_b32_e32 v60, 0
	v_mov_b32_e32 v63, 0
	s_and_saveexec_b64 s[0:1], s[28:29]
	s_cbranch_execz .LBB15_119
; %bb.118:
	v_lshlrev_b32_e32 v27, 1, v0
	ds_read_u16 v27, v27 offset:3072
	s_waitcnt lgkmcnt(0)
	v_lshrrev_b32_e32 v27, s68, v27
	v_and_b32_e32 v63, s74, v27
.LBB15_119:
	s_or_b64 exec, exec, s[0:1]
	s_and_saveexec_b64 s[0:1], s[30:31]
	s_cbranch_execz .LBB15_121
; %bb.120:
	v_lshlrev_b32_e32 v27, 1, v0
	ds_read_u16 v27, v27 offset:3584
	s_waitcnt lgkmcnt(0)
	v_lshrrev_b32_e32 v27, s68, v27
	v_and_b32_e32 v60, s74, v27
.LBB15_121:
	;; [unrolled: 22-line block ×6, first 2 shown]
	s_or_b64 exec, exec, s[0:1]
	v_lshlrev_b32_e32 v44, 3, v44
	s_waitcnt vmcnt(0)
	s_barrier
	ds_write_b64 v44, v[3:4] offset:2048
	v_lshlrev_b32_e32 v3, 3, v43
	ds_write_b64 v3, v[5:6] offset:2048
	v_lshlrev_b32_e32 v3, 3, v42
	;; [unrolled: 2-line block ×11, first 2 shown]
	ds_write_b64 v3, v[25:26] offset:2048
	s_waitcnt lgkmcnt(0)
	s_barrier
	s_and_saveexec_b64 s[0:1], s[24:25]
	s_cbranch_execz .LBB15_196
; %bb.138:
	v_lshlrev_b32_e32 v3, 3, v64
	ds_read_b64 v[3:4], v3
	ds_read_b64 v[5:6], v32 offset:2048
	v_mov_b32_e32 v7, s63
	s_waitcnt lgkmcnt(1)
	v_lshlrev_b64 v[3:4], 3, v[3:4]
	v_add_co_u32_e32 v3, vcc, s62, v3
	v_addc_co_u32_e32 v4, vcc, v7, v4, vcc
	v_add_co_u32_e32 v3, vcc, v3, v32
	v_addc_co_u32_e32 v4, vcc, 0, v4, vcc
	s_waitcnt lgkmcnt(0)
	global_store_dwordx2 v[3:4], v[5:6], off
	s_or_b64 exec, exec, s[0:1]
	s_and_saveexec_b64 s[0:1], s[26:27]
	s_cbranch_execnz .LBB15_197
.LBB15_139:
	s_or_b64 exec, exec, s[0:1]
	s_and_saveexec_b64 s[0:1], s[28:29]
	s_cbranch_execz .LBB15_198
.LBB15_140:
	v_lshlrev_b32_e32 v3, 3, v63
	ds_read_b64 v[3:4], v3
	ds_read_b64 v[5:6], v32 offset:6144
	v_mov_b32_e32 v7, s63
	s_waitcnt lgkmcnt(1)
	v_lshlrev_b64 v[3:4], 3, v[3:4]
	v_add_co_u32_e32 v3, vcc, s62, v3
	v_addc_co_u32_e32 v4, vcc, v7, v4, vcc
	v_lshlrev_b32_e32 v7, 3, v45
	v_add_co_u32_e32 v3, vcc, v3, v7
	v_addc_co_u32_e32 v4, vcc, 0, v4, vcc
	s_waitcnt lgkmcnt(0)
	global_store_dwordx2 v[3:4], v[5:6], off
	s_or_b64 exec, exec, s[0:1]
	s_and_saveexec_b64 s[0:1], s[30:31]
	s_cbranch_execnz .LBB15_199
.LBB15_141:
	s_or_b64 exec, exec, s[0:1]
	s_and_saveexec_b64 s[0:1], s[34:35]
	s_cbranch_execz .LBB15_200
.LBB15_142:
	v_lshlrev_b32_e32 v3, 3, v61
	ds_read_b64 v[3:4], v3
	ds_read_b64 v[5:6], v32 offset:10240
	v_mov_b32_e32 v7, s63
	s_waitcnt lgkmcnt(1)
	v_lshlrev_b64 v[3:4], 3, v[3:4]
	v_add_co_u32_e32 v3, vcc, s62, v3
	v_addc_co_u32_e32 v4, vcc, v7, v4, vcc
	v_lshlrev_b32_e32 v7, 3, v47
	v_add_co_u32_e32 v3, vcc, v3, v7
	v_addc_co_u32_e32 v4, vcc, 0, v4, vcc
	s_waitcnt lgkmcnt(0)
	global_store_dwordx2 v[3:4], v[5:6], off
	s_or_b64 exec, exec, s[0:1]
	s_and_saveexec_b64 s[0:1], s[36:37]
	s_cbranch_execnz .LBB15_201
.LBB15_143:
	s_or_b64 exec, exec, s[0:1]
	s_and_saveexec_b64 s[0:1], s[38:39]
	s_cbranch_execz .LBB15_202
.LBB15_144:
	v_lshlrev_b32_e32 v3, 3, v59
	ds_read_b64 v[3:4], v3
	ds_read_b64 v[5:6], v32 offset:14336
	v_mov_b32_e32 v7, s63
	s_waitcnt lgkmcnt(1)
	v_lshlrev_b64 v[3:4], 3, v[3:4]
	v_add_co_u32_e32 v3, vcc, s62, v3
	v_addc_co_u32_e32 v4, vcc, v7, v4, vcc
	v_lshlrev_b32_e32 v7, 3, v49
	v_add_co_u32_e32 v3, vcc, v3, v7
	v_addc_co_u32_e32 v4, vcc, 0, v4, vcc
	s_waitcnt lgkmcnt(0)
	global_store_dwordx2 v[3:4], v[5:6], off
	s_or_b64 exec, exec, s[0:1]
	s_and_saveexec_b64 s[0:1], s[40:41]
	s_cbranch_execnz .LBB15_203
.LBB15_145:
	s_or_b64 exec, exec, s[0:1]
	s_and_saveexec_b64 s[0:1], s[42:43]
	s_cbranch_execz .LBB15_204
.LBB15_146:
	v_lshlrev_b32_e32 v3, 3, v57
	ds_read_b64 v[3:4], v3
	ds_read_b64 v[5:6], v32 offset:18432
	v_mov_b32_e32 v7, s63
	s_waitcnt lgkmcnt(1)
	v_lshlrev_b64 v[3:4], 3, v[3:4]
	v_add_co_u32_e32 v3, vcc, s62, v3
	v_addc_co_u32_e32 v4, vcc, v7, v4, vcc
	v_lshlrev_b32_e32 v7, 3, v51
	v_add_co_u32_e32 v3, vcc, v3, v7
	v_addc_co_u32_e32 v4, vcc, 0, v4, vcc
	s_waitcnt lgkmcnt(0)
	global_store_dwordx2 v[3:4], v[5:6], off
	s_or_b64 exec, exec, s[0:1]
	s_and_saveexec_b64 s[0:1], s[44:45]
	s_cbranch_execnz .LBB15_205
.LBB15_147:
	s_or_b64 exec, exec, s[0:1]
	s_and_saveexec_b64 s[0:1], s[46:47]
	s_cbranch_execz .LBB15_206
.LBB15_148:
	v_lshlrev_b32_e32 v3, 3, v55
	ds_read_b64 v[3:4], v3
	ds_read_b64 v[5:6], v32 offset:22528
	v_mov_b32_e32 v7, s63
	s_waitcnt lgkmcnt(1)
	v_lshlrev_b64 v[3:4], 3, v[3:4]
	v_add_co_u32_e32 v3, vcc, s62, v3
	v_addc_co_u32_e32 v4, vcc, v7, v4, vcc
	v_lshlrev_b32_e32 v7, 3, v53
	v_add_co_u32_e32 v3, vcc, v3, v7
	v_addc_co_u32_e32 v4, vcc, 0, v4, vcc
	s_waitcnt lgkmcnt(0)
	global_store_dwordx2 v[3:4], v[5:6], off
	s_or_b64 exec, exec, s[0:1]
	s_and_saveexec_b64 s[0:1], s[48:49]
	s_cbranch_execnz .LBB15_207
.LBB15_149:
	s_or_b64 exec, exec, s[0:1]
	s_add_i32 s33, s33, -1
	s_cmp_eq_u32 s6, s33
	s_cbranch_scc0 .LBB15_151
.LBB15_150:
	ds_read_b64 v[3:4], v32
	v_add_co_u32_e32 v5, vcc, v31, v30
	v_addc_co_u32_e64 v6, s[0:1], 0, 0, vcc
	s_waitcnt lgkmcnt(0)
	v_add_co_u32_e32 v3, vcc, v5, v3
	v_addc_co_u32_e32 v4, vcc, v6, v4, vcc
	global_store_dwordx2 v32, v[3:4], s[66:67]
.LBB15_151:
	s_mov_b64 s[0:1], 0
.LBB15_152:
	s_and_b64 vcc, exec, s[0:1]
	s_cbranch_vccz .LBB15_195
; %bb.153:
	s_mov_b32 s55, 0
	s_lshl_b64 s[0:1], s[54:55], 1
	v_mbcnt_hi_u32_b32 v8, -1, v29
	s_add_u32 s0, s56, s0
	v_lshlrev_b32_e32 v4, 1, v8
	v_add_co_u32_e32 v4, vcc, s0, v4
	s_load_dword s8, s[4:5], 0x50
	s_load_dword s0, s[4:5], 0x5c
	s_addc_u32 s1, s57, s1
	v_and_b32_e32 v9, 0xc0, v0
	v_mul_u32_u24_e32 v7, 12, v9
	v_mov_b32_e32 v5, s1
	s_add_u32 s1, s4, 0x50
	v_addc_co_u32_e32 v5, vcc, 0, v5, vcc
	v_lshlrev_b32_e32 v6, 1, v7
	s_addc_u32 s2, s5, 0
	s_waitcnt lgkmcnt(0)
	s_lshr_b32 s3, s0, 16
	v_add_co_u32_e32 v4, vcc, v4, v6
	s_cmp_lt_u32 s6, s8
	v_addc_co_u32_e32 v5, vcc, 0, v5, vcc
	s_cselect_b32 s0, 12, 18
	global_load_ushort v10, v[4:5], off
	s_add_u32 s0, s1, s0
	v_mov_b32_e32 v3, 0
	s_addc_u32 s1, s2, 0
	global_load_ushort v12, v3, s[0:1]
	v_mul_u32_u24_e32 v6, 20, v0
	ds_write2_b32 v6, v3, v3 offset0:4 offset1:5
	ds_write2_b32 v6, v3, v3 offset0:6 offset1:7
	ds_write_b32 v6, v3 offset:32
	global_load_ushort v11, v[4:5], off offset:128
	global_load_ushort v15, v[4:5], off offset:256
	;; [unrolled: 1-line block ×11, first 2 shown]
	s_lshl_b32 s0, -1, s69
	v_mad_u32_u24 v1, v2, s3, v1
	s_not_b32 s9, s0
	s_waitcnt vmcnt(0) lgkmcnt(0)
	s_barrier
	; wave barrier
	v_xor_b32_e32 v5, -1, v10
	v_lshrrev_b32_sdwa v2, s68, v5 dst_sel:DWORD dst_unused:UNUSED_PAD src0_sel:DWORD src1_sel:WORD_0
	v_and_b32_e32 v13, s9, v2
	v_lshlrev_b32_e32 v4, 30, v13
	v_mad_u64_u32 v[1:2], s[0:1], v1, v12, v[0:1]
	v_and_b32_e32 v2, 1, v13
	v_add_co_u32_e32 v10, vcc, -1, v2
	v_addc_co_u32_e64 v12, s[0:1], 0, -1, vcc
	v_cmp_ne_u32_e32 vcc, 0, v2
	v_cmp_gt_i64_e64 s[0:1], 0, v[3:4]
	v_not_b32_e32 v2, v4
	v_lshlrev_b32_e32 v4, 29, v13
	v_xor_b32_e32 v12, vcc_hi, v12
	v_xor_b32_e32 v10, vcc_lo, v10
	v_ashrrev_i32_e32 v2, 31, v2
	v_cmp_gt_i64_e32 vcc, 0, v[3:4]
	v_not_b32_e32 v14, v4
	v_lshlrev_b32_e32 v4, 28, v13
	v_and_b32_e32 v12, exec_hi, v12
	v_and_b32_e32 v10, exec_lo, v10
	v_xor_b32_e32 v16, s1, v2
	v_xor_b32_e32 v2, s0, v2
	v_ashrrev_i32_e32 v14, 31, v14
	v_cmp_gt_i64_e64 s[0:1], 0, v[3:4]
	v_not_b32_e32 v17, v4
	v_lshlrev_b32_e32 v4, 27, v13
	v_lshrrev_b32_e32 v1, 6, v1
	v_and_b32_e32 v12, v12, v16
	v_and_b32_e32 v2, v10, v2
	v_xor_b32_e32 v10, vcc_hi, v14
	v_xor_b32_e32 v14, vcc_lo, v14
	v_ashrrev_i32_e32 v16, 31, v17
	v_cmp_gt_i64_e32 vcc, 0, v[3:4]
	v_not_b32_e32 v4, v4
	v_lshlrev_b32_e32 v20, 2, v1
	v_and_b32_e32 v1, v12, v10
	v_and_b32_e32 v2, v2, v14
	v_xor_b32_e32 v12, s1, v16
	v_xor_b32_e32 v14, s0, v16
	v_ashrrev_i32_e32 v4, 31, v4
	v_and_b32_e32 v1, v1, v12
	v_and_b32_e32 v2, v2, v14
	v_xor_b32_e32 v12, vcc_hi, v4
	v_xor_b32_e32 v4, vcc_lo, v4
	v_and_b32_e32 v2, v2, v4
	v_lshlrev_b32_e32 v4, 26, v13
	v_cmp_gt_i64_e32 vcc, 0, v[3:4]
	v_not_b32_e32 v4, v4
	v_ashrrev_i32_e32 v4, 31, v4
	v_and_b32_e32 v1, v1, v12
	v_xor_b32_e32 v12, vcc_hi, v4
	v_xor_b32_e32 v4, vcc_lo, v4
	v_and_b32_e32 v2, v2, v4
	v_lshlrev_b32_e32 v4, 25, v13
	v_cmp_gt_i64_e32 vcc, 0, v[3:4]
	v_not_b32_e32 v4, v4
	v_ashrrev_i32_e32 v4, 31, v4
	v_and_b32_e32 v1, v1, v12
	v_xor_b32_e32 v12, vcc_hi, v4
	v_xor_b32_e32 v4, vcc_lo, v4
	v_and_b32_e32 v1, v1, v12
	v_and_b32_e32 v12, v2, v4
	v_lshlrev_b32_e32 v4, 24, v13
	v_cmp_gt_i64_e32 vcc, 0, v[3:4]
	v_not_b32_e32 v2, v4
	v_ashrrev_i32_e32 v2, 31, v2
	v_mad_u32_u24 v10, v13, 20, v20
	v_xor_b32_e32 v4, vcc_hi, v2
	v_xor_b32_e32 v13, vcc_lo, v2
	v_and_b32_e32 v2, v1, v4
	v_and_b32_e32 v1, v12, v13
	v_mbcnt_lo_u32_b32 v4, v1, 0
	v_mbcnt_hi_u32_b32 v12, v2, v4
	v_cmp_ne_u64_e32 vcc, 0, v[1:2]
	v_cmp_eq_u32_e64 s[0:1], 0, v12
	s_and_b64 s[2:3], vcc, s[0:1]
	s_and_saveexec_b64 s[0:1], s[2:3]
; %bb.154:
	v_bcnt_u32_b32 v1, v1, 0
	v_bcnt_u32_b32 v1, v2, v1
	ds_write_b32 v10, v1 offset:16
; %bb.155:
	s_or_b64 exec, exec, s[0:1]
	v_xor_b32_e32 v11, -1, v11
	v_lshrrev_b32_sdwa v1, s68, v11 dst_sel:DWORD dst_unused:UNUSED_PAD src0_sel:DWORD src1_sel:WORD_0
	v_and_b32_e32 v1, s9, v1
	v_and_b32_e32 v2, 1, v1
	v_add_co_u32_e32 v4, vcc, -1, v2
	v_addc_co_u32_e64 v16, s[0:1], 0, -1, vcc
	v_cmp_ne_u32_e32 vcc, 0, v2
	v_xor_b32_e32 v4, vcc_lo, v4
	v_xor_b32_e32 v2, vcc_hi, v16
	v_and_b32_e32 v16, exec_lo, v4
	v_lshlrev_b32_e32 v4, 30, v1
	v_cmp_gt_i64_e32 vcc, 0, v[3:4]
	v_not_b32_e32 v4, v4
	v_ashrrev_i32_e32 v4, 31, v4
	v_xor_b32_e32 v17, vcc_hi, v4
	v_xor_b32_e32 v4, vcc_lo, v4
	v_and_b32_e32 v16, v16, v4
	v_lshlrev_b32_e32 v4, 29, v1
	v_cmp_gt_i64_e32 vcc, 0, v[3:4]
	v_not_b32_e32 v4, v4
	v_and_b32_e32 v2, exec_hi, v2
	v_ashrrev_i32_e32 v4, 31, v4
	v_and_b32_e32 v2, v2, v17
	v_xor_b32_e32 v17, vcc_hi, v4
	v_xor_b32_e32 v4, vcc_lo, v4
	v_and_b32_e32 v16, v16, v4
	v_lshlrev_b32_e32 v4, 28, v1
	v_cmp_gt_i64_e32 vcc, 0, v[3:4]
	v_not_b32_e32 v4, v4
	v_ashrrev_i32_e32 v4, 31, v4
	v_and_b32_e32 v2, v2, v17
	v_xor_b32_e32 v17, vcc_hi, v4
	v_xor_b32_e32 v4, vcc_lo, v4
	v_and_b32_e32 v16, v16, v4
	v_lshlrev_b32_e32 v4, 27, v1
	v_cmp_gt_i64_e32 vcc, 0, v[3:4]
	v_not_b32_e32 v4, v4
	v_ashrrev_i32_e32 v4, 31, v4
	v_and_b32_e32 v2, v2, v17
	v_xor_b32_e32 v17, vcc_hi, v4
	v_xor_b32_e32 v4, vcc_lo, v4
	v_and_b32_e32 v16, v16, v4
	v_lshlrev_b32_e32 v4, 26, v1
	v_cmp_gt_i64_e32 vcc, 0, v[3:4]
	v_not_b32_e32 v4, v4
	v_ashrrev_i32_e32 v4, 31, v4
	v_and_b32_e32 v2, v2, v17
	v_xor_b32_e32 v17, vcc_hi, v4
	v_xor_b32_e32 v4, vcc_lo, v4
	v_and_b32_e32 v16, v16, v4
	v_lshlrev_b32_e32 v4, 25, v1
	v_cmp_gt_i64_e32 vcc, 0, v[3:4]
	v_not_b32_e32 v4, v4
	v_ashrrev_i32_e32 v4, 31, v4
	v_and_b32_e32 v2, v2, v17
	v_xor_b32_e32 v17, vcc_hi, v4
	v_xor_b32_e32 v4, vcc_lo, v4
	v_and_b32_e32 v16, v16, v4
	v_lshlrev_b32_e32 v4, 24, v1
	v_mad_u32_u24 v14, v1, 20, v20
	v_cmp_gt_i64_e32 vcc, 0, v[3:4]
	v_not_b32_e32 v1, v4
	v_ashrrev_i32_e32 v1, 31, v1
	v_xor_b32_e32 v3, vcc_hi, v1
	v_xor_b32_e32 v1, vcc_lo, v1
	; wave barrier
	ds_read_b32 v13, v14 offset:16
	v_and_b32_e32 v2, v2, v17
	v_and_b32_e32 v1, v16, v1
	v_and_b32_e32 v2, v2, v3
	v_mbcnt_lo_u32_b32 v3, v1, 0
	v_mbcnt_hi_u32_b32 v16, v2, v3
	v_cmp_ne_u64_e32 vcc, 0, v[1:2]
	v_cmp_eq_u32_e64 s[0:1], 0, v16
	s_and_b64 s[2:3], vcc, s[0:1]
	; wave barrier
	s_and_saveexec_b64 s[0:1], s[2:3]
	s_cbranch_execz .LBB15_157
; %bb.156:
	v_bcnt_u32_b32 v1, v1, 0
	v_bcnt_u32_b32 v1, v2, v1
	s_waitcnt lgkmcnt(0)
	v_add_u32_e32 v1, v13, v1
	ds_write_b32 v14, v1 offset:16
.LBB15_157:
	s_or_b64 exec, exec, s[0:1]
	v_xor_b32_e32 v15, -1, v15
	v_lshrrev_b32_sdwa v1, s68, v15 dst_sel:DWORD dst_unused:UNUSED_PAD src0_sel:DWORD src1_sel:WORD_0
	v_and_b32_e32 v3, s9, v1
	v_and_b32_e32 v2, 1, v3
	v_add_co_u32_e32 v4, vcc, -1, v2
	v_addc_co_u32_e64 v22, s[0:1], 0, -1, vcc
	v_cmp_ne_u32_e32 vcc, 0, v2
	v_xor_b32_e32 v2, vcc_hi, v22
	v_mov_b32_e32 v1, 0
	v_and_b32_e32 v22, exec_hi, v2
	v_lshlrev_b32_e32 v2, 30, v3
	v_xor_b32_e32 v4, vcc_lo, v4
	v_cmp_gt_i64_e32 vcc, 0, v[1:2]
	v_not_b32_e32 v2, v2
	v_ashrrev_i32_e32 v2, 31, v2
	v_and_b32_e32 v4, exec_lo, v4
	v_xor_b32_e32 v23, vcc_hi, v2
	v_xor_b32_e32 v2, vcc_lo, v2
	v_and_b32_e32 v4, v4, v2
	v_lshlrev_b32_e32 v2, 29, v3
	v_cmp_gt_i64_e32 vcc, 0, v[1:2]
	v_not_b32_e32 v2, v2
	v_ashrrev_i32_e32 v2, 31, v2
	v_and_b32_e32 v22, v22, v23
	v_xor_b32_e32 v23, vcc_hi, v2
	v_xor_b32_e32 v2, vcc_lo, v2
	v_and_b32_e32 v4, v4, v2
	v_lshlrev_b32_e32 v2, 28, v3
	v_cmp_gt_i64_e32 vcc, 0, v[1:2]
	v_not_b32_e32 v2, v2
	v_ashrrev_i32_e32 v2, 31, v2
	v_and_b32_e32 v22, v22, v23
	;; [unrolled: 8-line block ×5, first 2 shown]
	v_xor_b32_e32 v23, vcc_hi, v2
	v_xor_b32_e32 v2, vcc_lo, v2
	v_and_b32_e32 v4, v4, v2
	v_lshlrev_b32_e32 v2, 24, v3
	v_cmp_gt_i64_e32 vcc, 0, v[1:2]
	v_not_b32_e32 v2, v2
	v_ashrrev_i32_e32 v2, 31, v2
	v_mad_u32_u24 v19, v3, 20, v20
	v_xor_b32_e32 v3, vcc_hi, v2
	v_xor_b32_e32 v2, vcc_lo, v2
	; wave barrier
	ds_read_b32 v17, v19 offset:16
	v_and_b32_e32 v22, v22, v23
	v_and_b32_e32 v2, v4, v2
	;; [unrolled: 1-line block ×3, first 2 shown]
	v_mbcnt_lo_u32_b32 v4, v2, 0
	v_mbcnt_hi_u32_b32 v22, v3, v4
	v_cmp_ne_u64_e32 vcc, 0, v[2:3]
	v_cmp_eq_u32_e64 s[0:1], 0, v22
	s_and_b64 s[2:3], vcc, s[0:1]
	; wave barrier
	s_and_saveexec_b64 s[0:1], s[2:3]
	s_cbranch_execz .LBB15_159
; %bb.158:
	v_bcnt_u32_b32 v2, v2, 0
	v_bcnt_u32_b32 v2, v3, v2
	s_waitcnt lgkmcnt(0)
	v_add_u32_e32 v2, v17, v2
	ds_write_b32 v19, v2 offset:16
.LBB15_159:
	s_or_b64 exec, exec, s[0:1]
	v_xor_b32_e32 v21, -1, v21
	v_lshrrev_b32_sdwa v2, s68, v21 dst_sel:DWORD dst_unused:UNUSED_PAD src0_sel:DWORD src1_sel:WORD_0
	v_and_b32_e32 v3, s9, v2
	v_and_b32_e32 v2, 1, v3
	v_add_co_u32_e32 v4, vcc, -1, v2
	v_addc_co_u32_e64 v27, s[0:1], 0, -1, vcc
	v_cmp_ne_u32_e32 vcc, 0, v2
	v_xor_b32_e32 v2, vcc_hi, v27
	v_and_b32_e32 v27, exec_hi, v2
	v_lshlrev_b32_e32 v2, 30, v3
	v_xor_b32_e32 v4, vcc_lo, v4
	v_cmp_gt_i64_e32 vcc, 0, v[1:2]
	v_not_b32_e32 v2, v2
	v_ashrrev_i32_e32 v2, 31, v2
	v_and_b32_e32 v4, exec_lo, v4
	v_xor_b32_e32 v28, vcc_hi, v2
	v_xor_b32_e32 v2, vcc_lo, v2
	v_and_b32_e32 v4, v4, v2
	v_lshlrev_b32_e32 v2, 29, v3
	v_cmp_gt_i64_e32 vcc, 0, v[1:2]
	v_not_b32_e32 v2, v2
	v_ashrrev_i32_e32 v2, 31, v2
	v_and_b32_e32 v27, v27, v28
	v_xor_b32_e32 v28, vcc_hi, v2
	v_xor_b32_e32 v2, vcc_lo, v2
	v_and_b32_e32 v4, v4, v2
	v_lshlrev_b32_e32 v2, 28, v3
	v_cmp_gt_i64_e32 vcc, 0, v[1:2]
	v_not_b32_e32 v2, v2
	v_ashrrev_i32_e32 v2, 31, v2
	v_and_b32_e32 v27, v27, v28
	;; [unrolled: 8-line block ×5, first 2 shown]
	v_xor_b32_e32 v28, vcc_hi, v2
	v_xor_b32_e32 v2, vcc_lo, v2
	v_and_b32_e32 v4, v4, v2
	v_lshlrev_b32_e32 v2, 24, v3
	v_cmp_gt_i64_e32 vcc, 0, v[1:2]
	v_not_b32_e32 v1, v2
	v_ashrrev_i32_e32 v1, 31, v1
	v_mad_u32_u24 v25, v3, 20, v20
	v_xor_b32_e32 v2, vcc_hi, v1
	v_xor_b32_e32 v1, vcc_lo, v1
	; wave barrier
	ds_read_b32 v23, v25 offset:16
	v_and_b32_e32 v27, v27, v28
	v_and_b32_e32 v1, v4, v1
	;; [unrolled: 1-line block ×3, first 2 shown]
	v_mbcnt_lo_u32_b32 v3, v1, 0
	v_mbcnt_hi_u32_b32 v27, v2, v3
	v_cmp_ne_u64_e32 vcc, 0, v[1:2]
	v_cmp_eq_u32_e64 s[0:1], 0, v27
	s_and_b64 s[2:3], vcc, s[0:1]
	; wave barrier
	s_and_saveexec_b64 s[0:1], s[2:3]
	s_cbranch_execz .LBB15_161
; %bb.160:
	v_bcnt_u32_b32 v1, v1, 0
	v_bcnt_u32_b32 v1, v2, v1
	s_waitcnt lgkmcnt(0)
	v_add_u32_e32 v1, v23, v1
	ds_write_b32 v25, v1 offset:16
.LBB15_161:
	s_or_b64 exec, exec, s[0:1]
	v_xor_b32_e32 v26, -1, v26
	v_lshrrev_b32_sdwa v1, s68, v26 dst_sel:DWORD dst_unused:UNUSED_PAD src0_sel:DWORD src1_sel:WORD_0
	v_and_b32_e32 v3, s9, v1
	v_and_b32_e32 v2, 1, v3
	v_add_co_u32_e32 v4, vcc, -1, v2
	v_addc_co_u32_e64 v32, s[0:1], 0, -1, vcc
	v_cmp_ne_u32_e32 vcc, 0, v2
	v_xor_b32_e32 v2, vcc_hi, v32
	v_mov_b32_e32 v1, 0
	v_and_b32_e32 v32, exec_hi, v2
	v_lshlrev_b32_e32 v2, 30, v3
	v_xor_b32_e32 v4, vcc_lo, v4
	v_cmp_gt_i64_e32 vcc, 0, v[1:2]
	v_not_b32_e32 v2, v2
	v_ashrrev_i32_e32 v2, 31, v2
	v_and_b32_e32 v4, exec_lo, v4
	v_xor_b32_e32 v33, vcc_hi, v2
	v_xor_b32_e32 v2, vcc_lo, v2
	v_and_b32_e32 v4, v4, v2
	v_lshlrev_b32_e32 v2, 29, v3
	v_cmp_gt_i64_e32 vcc, 0, v[1:2]
	v_not_b32_e32 v2, v2
	v_ashrrev_i32_e32 v2, 31, v2
	v_and_b32_e32 v32, v32, v33
	v_xor_b32_e32 v33, vcc_hi, v2
	v_xor_b32_e32 v2, vcc_lo, v2
	v_and_b32_e32 v4, v4, v2
	v_lshlrev_b32_e32 v2, 28, v3
	v_cmp_gt_i64_e32 vcc, 0, v[1:2]
	v_not_b32_e32 v2, v2
	v_ashrrev_i32_e32 v2, 31, v2
	v_and_b32_e32 v32, v32, v33
	;; [unrolled: 8-line block ×5, first 2 shown]
	v_xor_b32_e32 v33, vcc_hi, v2
	v_xor_b32_e32 v2, vcc_lo, v2
	v_and_b32_e32 v4, v4, v2
	v_lshlrev_b32_e32 v2, 24, v3
	v_cmp_gt_i64_e32 vcc, 0, v[1:2]
	v_not_b32_e32 v2, v2
	v_ashrrev_i32_e32 v2, 31, v2
	v_mad_u32_u24 v30, v3, 20, v20
	v_xor_b32_e32 v3, vcc_hi, v2
	v_xor_b32_e32 v2, vcc_lo, v2
	; wave barrier
	ds_read_b32 v28, v30 offset:16
	v_and_b32_e32 v32, v32, v33
	v_and_b32_e32 v2, v4, v2
	;; [unrolled: 1-line block ×3, first 2 shown]
	v_mbcnt_lo_u32_b32 v4, v2, 0
	v_mbcnt_hi_u32_b32 v32, v3, v4
	v_cmp_ne_u64_e32 vcc, 0, v[2:3]
	v_cmp_eq_u32_e64 s[0:1], 0, v32
	s_and_b64 s[2:3], vcc, s[0:1]
	; wave barrier
	s_and_saveexec_b64 s[0:1], s[2:3]
	s_cbranch_execz .LBB15_163
; %bb.162:
	v_bcnt_u32_b32 v2, v2, 0
	v_bcnt_u32_b32 v2, v3, v2
	s_waitcnt lgkmcnt(0)
	v_add_u32_e32 v2, v28, v2
	ds_write_b32 v30, v2 offset:16
.LBB15_163:
	s_or_b64 exec, exec, s[0:1]
	v_xor_b32_e32 v31, -1, v31
	v_lshrrev_b32_sdwa v2, s68, v31 dst_sel:DWORD dst_unused:UNUSED_PAD src0_sel:DWORD src1_sel:WORD_0
	v_and_b32_e32 v3, s9, v2
	v_and_b32_e32 v2, 1, v3
	v_add_co_u32_e32 v4, vcc, -1, v2
	v_addc_co_u32_e64 v37, s[0:1], 0, -1, vcc
	v_cmp_ne_u32_e32 vcc, 0, v2
	v_xor_b32_e32 v2, vcc_hi, v37
	v_and_b32_e32 v37, exec_hi, v2
	v_lshlrev_b32_e32 v2, 30, v3
	v_xor_b32_e32 v4, vcc_lo, v4
	v_cmp_gt_i64_e32 vcc, 0, v[1:2]
	v_not_b32_e32 v2, v2
	v_ashrrev_i32_e32 v2, 31, v2
	v_and_b32_e32 v4, exec_lo, v4
	v_xor_b32_e32 v38, vcc_hi, v2
	v_xor_b32_e32 v2, vcc_lo, v2
	v_and_b32_e32 v4, v4, v2
	v_lshlrev_b32_e32 v2, 29, v3
	v_cmp_gt_i64_e32 vcc, 0, v[1:2]
	v_not_b32_e32 v2, v2
	v_ashrrev_i32_e32 v2, 31, v2
	v_and_b32_e32 v37, v37, v38
	v_xor_b32_e32 v38, vcc_hi, v2
	v_xor_b32_e32 v2, vcc_lo, v2
	v_and_b32_e32 v4, v4, v2
	v_lshlrev_b32_e32 v2, 28, v3
	v_cmp_gt_i64_e32 vcc, 0, v[1:2]
	v_not_b32_e32 v2, v2
	v_ashrrev_i32_e32 v2, 31, v2
	v_and_b32_e32 v37, v37, v38
	;; [unrolled: 8-line block ×5, first 2 shown]
	v_xor_b32_e32 v38, vcc_hi, v2
	v_xor_b32_e32 v2, vcc_lo, v2
	v_and_b32_e32 v4, v4, v2
	v_lshlrev_b32_e32 v2, 24, v3
	v_cmp_gt_i64_e32 vcc, 0, v[1:2]
	v_not_b32_e32 v1, v2
	v_ashrrev_i32_e32 v1, 31, v1
	v_mad_u32_u24 v35, v3, 20, v20
	v_xor_b32_e32 v2, vcc_hi, v1
	v_xor_b32_e32 v1, vcc_lo, v1
	; wave barrier
	ds_read_b32 v33, v35 offset:16
	v_and_b32_e32 v37, v37, v38
	v_and_b32_e32 v1, v4, v1
	;; [unrolled: 1-line block ×3, first 2 shown]
	v_mbcnt_lo_u32_b32 v3, v1, 0
	v_mbcnt_hi_u32_b32 v37, v2, v3
	v_cmp_ne_u64_e32 vcc, 0, v[1:2]
	v_cmp_eq_u32_e64 s[0:1], 0, v37
	s_and_b64 s[2:3], vcc, s[0:1]
	; wave barrier
	s_and_saveexec_b64 s[0:1], s[2:3]
	s_cbranch_execz .LBB15_165
; %bb.164:
	v_bcnt_u32_b32 v1, v1, 0
	v_bcnt_u32_b32 v1, v2, v1
	s_waitcnt lgkmcnt(0)
	v_add_u32_e32 v1, v33, v1
	ds_write_b32 v35, v1 offset:16
.LBB15_165:
	s_or_b64 exec, exec, s[0:1]
	v_xor_b32_e32 v36, -1, v36
	v_lshrrev_b32_sdwa v1, s68, v36 dst_sel:DWORD dst_unused:UNUSED_PAD src0_sel:DWORD src1_sel:WORD_0
	v_and_b32_e32 v3, s9, v1
	v_and_b32_e32 v2, 1, v3
	v_add_co_u32_e32 v4, vcc, -1, v2
	v_addc_co_u32_e64 v41, s[0:1], 0, -1, vcc
	v_cmp_ne_u32_e32 vcc, 0, v2
	v_xor_b32_e32 v2, vcc_hi, v41
	v_mov_b32_e32 v1, 0
	v_and_b32_e32 v41, exec_hi, v2
	v_lshlrev_b32_e32 v2, 30, v3
	v_xor_b32_e32 v4, vcc_lo, v4
	v_cmp_gt_i64_e32 vcc, 0, v[1:2]
	v_not_b32_e32 v2, v2
	v_ashrrev_i32_e32 v2, 31, v2
	v_and_b32_e32 v4, exec_lo, v4
	v_xor_b32_e32 v42, vcc_hi, v2
	v_xor_b32_e32 v2, vcc_lo, v2
	v_and_b32_e32 v4, v4, v2
	v_lshlrev_b32_e32 v2, 29, v3
	v_cmp_gt_i64_e32 vcc, 0, v[1:2]
	v_not_b32_e32 v2, v2
	v_ashrrev_i32_e32 v2, 31, v2
	v_and_b32_e32 v41, v41, v42
	v_xor_b32_e32 v42, vcc_hi, v2
	v_xor_b32_e32 v2, vcc_lo, v2
	v_and_b32_e32 v4, v4, v2
	v_lshlrev_b32_e32 v2, 28, v3
	v_cmp_gt_i64_e32 vcc, 0, v[1:2]
	v_not_b32_e32 v2, v2
	v_ashrrev_i32_e32 v2, 31, v2
	v_and_b32_e32 v41, v41, v42
	v_xor_b32_e32 v42, vcc_hi, v2
	v_xor_b32_e32 v2, vcc_lo, v2
	v_and_b32_e32 v4, v4, v2
	v_lshlrev_b32_e32 v2, 27, v3
	v_cmp_gt_i64_e32 vcc, 0, v[1:2]
	v_not_b32_e32 v2, v2
	v_ashrrev_i32_e32 v2, 31, v2
	v_and_b32_e32 v41, v41, v42
	v_xor_b32_e32 v42, vcc_hi, v2
	v_xor_b32_e32 v2, vcc_lo, v2
	v_and_b32_e32 v4, v4, v2
	v_lshlrev_b32_e32 v2, 26, v3
	v_cmp_gt_i64_e32 vcc, 0, v[1:2]
	v_not_b32_e32 v2, v2
	v_ashrrev_i32_e32 v2, 31, v2
	v_and_b32_e32 v41, v41, v42
	v_xor_b32_e32 v42, vcc_hi, v2
	v_xor_b32_e32 v2, vcc_lo, v2
	v_and_b32_e32 v4, v4, v2
	v_lshlrev_b32_e32 v2, 25, v3
	v_cmp_gt_i64_e32 vcc, 0, v[1:2]
	v_not_b32_e32 v2, v2
	v_ashrrev_i32_e32 v2, 31, v2
	v_and_b32_e32 v41, v41, v42
	v_xor_b32_e32 v42, vcc_hi, v2
	v_xor_b32_e32 v2, vcc_lo, v2
	v_and_b32_e32 v4, v4, v2
	v_lshlrev_b32_e32 v2, 24, v3
	v_cmp_gt_i64_e32 vcc, 0, v[1:2]
	v_not_b32_e32 v2, v2
	v_ashrrev_i32_e32 v2, 31, v2
	v_mad_u32_u24 v40, v3, 20, v20
	v_xor_b32_e32 v3, vcc_hi, v2
	v_xor_b32_e32 v2, vcc_lo, v2
	; wave barrier
	ds_read_b32 v38, v40 offset:16
	v_and_b32_e32 v41, v41, v42
	v_and_b32_e32 v2, v4, v2
	;; [unrolled: 1-line block ×3, first 2 shown]
	v_mbcnt_lo_u32_b32 v4, v2, 0
	v_mbcnt_hi_u32_b32 v41, v3, v4
	v_cmp_ne_u64_e32 vcc, 0, v[2:3]
	v_cmp_eq_u32_e64 s[0:1], 0, v41
	s_and_b64 s[2:3], vcc, s[0:1]
	; wave barrier
	s_and_saveexec_b64 s[0:1], s[2:3]
	s_cbranch_execz .LBB15_167
; %bb.166:
	v_bcnt_u32_b32 v2, v2, 0
	v_bcnt_u32_b32 v2, v3, v2
	s_waitcnt lgkmcnt(0)
	v_add_u32_e32 v2, v38, v2
	ds_write_b32 v40, v2 offset:16
.LBB15_167:
	s_or_b64 exec, exec, s[0:1]
	v_xor_b32_e32 v39, -1, v39
	v_lshrrev_b32_sdwa v2, s68, v39 dst_sel:DWORD dst_unused:UNUSED_PAD src0_sel:DWORD src1_sel:WORD_0
	v_and_b32_e32 v3, s9, v2
	v_and_b32_e32 v2, 1, v3
	v_add_co_u32_e32 v4, vcc, -1, v2
	v_addc_co_u32_e64 v44, s[0:1], 0, -1, vcc
	v_cmp_ne_u32_e32 vcc, 0, v2
	v_xor_b32_e32 v2, vcc_hi, v44
	v_and_b32_e32 v44, exec_hi, v2
	v_lshlrev_b32_e32 v2, 30, v3
	v_xor_b32_e32 v4, vcc_lo, v4
	v_cmp_gt_i64_e32 vcc, 0, v[1:2]
	v_not_b32_e32 v2, v2
	v_ashrrev_i32_e32 v2, 31, v2
	v_and_b32_e32 v4, exec_lo, v4
	v_xor_b32_e32 v45, vcc_hi, v2
	v_xor_b32_e32 v2, vcc_lo, v2
	v_and_b32_e32 v4, v4, v2
	v_lshlrev_b32_e32 v2, 29, v3
	v_cmp_gt_i64_e32 vcc, 0, v[1:2]
	v_not_b32_e32 v2, v2
	v_ashrrev_i32_e32 v2, 31, v2
	v_and_b32_e32 v44, v44, v45
	v_xor_b32_e32 v45, vcc_hi, v2
	v_xor_b32_e32 v2, vcc_lo, v2
	v_and_b32_e32 v4, v4, v2
	v_lshlrev_b32_e32 v2, 28, v3
	v_cmp_gt_i64_e32 vcc, 0, v[1:2]
	v_not_b32_e32 v2, v2
	v_ashrrev_i32_e32 v2, 31, v2
	v_and_b32_e32 v44, v44, v45
	;; [unrolled: 8-line block ×5, first 2 shown]
	v_xor_b32_e32 v45, vcc_hi, v2
	v_xor_b32_e32 v2, vcc_lo, v2
	v_and_b32_e32 v4, v4, v2
	v_lshlrev_b32_e32 v2, 24, v3
	v_cmp_gt_i64_e32 vcc, 0, v[1:2]
	v_not_b32_e32 v1, v2
	v_ashrrev_i32_e32 v1, 31, v1
	v_mad_u32_u24 v43, v3, 20, v20
	v_xor_b32_e32 v2, vcc_hi, v1
	v_xor_b32_e32 v1, vcc_lo, v1
	; wave barrier
	ds_read_b32 v42, v43 offset:16
	v_and_b32_e32 v44, v44, v45
	v_and_b32_e32 v1, v4, v1
	;; [unrolled: 1-line block ×3, first 2 shown]
	v_mbcnt_lo_u32_b32 v3, v1, 0
	v_mbcnt_hi_u32_b32 v44, v2, v3
	v_cmp_ne_u64_e32 vcc, 0, v[1:2]
	v_cmp_eq_u32_e64 s[0:1], 0, v44
	s_and_b64 s[2:3], vcc, s[0:1]
	; wave barrier
	s_and_saveexec_b64 s[0:1], s[2:3]
	s_cbranch_execz .LBB15_169
; %bb.168:
	v_bcnt_u32_b32 v1, v1, 0
	v_bcnt_u32_b32 v1, v2, v1
	s_waitcnt lgkmcnt(0)
	v_add_u32_e32 v1, v42, v1
	ds_write_b32 v43, v1 offset:16
.LBB15_169:
	s_or_b64 exec, exec, s[0:1]
	v_xor_b32_e32 v34, -1, v34
	v_lshrrev_b32_sdwa v1, s68, v34 dst_sel:DWORD dst_unused:UNUSED_PAD src0_sel:DWORD src1_sel:WORD_0
	v_and_b32_e32 v3, s9, v1
	v_and_b32_e32 v2, 1, v3
	v_add_co_u32_e32 v4, vcc, -1, v2
	v_addc_co_u32_e64 v47, s[0:1], 0, -1, vcc
	v_cmp_ne_u32_e32 vcc, 0, v2
	v_xor_b32_e32 v2, vcc_hi, v47
	v_mov_b32_e32 v1, 0
	v_and_b32_e32 v47, exec_hi, v2
	v_lshlrev_b32_e32 v2, 30, v3
	v_xor_b32_e32 v4, vcc_lo, v4
	v_cmp_gt_i64_e32 vcc, 0, v[1:2]
	v_not_b32_e32 v2, v2
	v_ashrrev_i32_e32 v2, 31, v2
	v_and_b32_e32 v4, exec_lo, v4
	v_xor_b32_e32 v48, vcc_hi, v2
	v_xor_b32_e32 v2, vcc_lo, v2
	v_and_b32_e32 v4, v4, v2
	v_lshlrev_b32_e32 v2, 29, v3
	v_cmp_gt_i64_e32 vcc, 0, v[1:2]
	v_not_b32_e32 v2, v2
	v_ashrrev_i32_e32 v2, 31, v2
	v_and_b32_e32 v47, v47, v48
	v_xor_b32_e32 v48, vcc_hi, v2
	v_xor_b32_e32 v2, vcc_lo, v2
	v_and_b32_e32 v4, v4, v2
	v_lshlrev_b32_e32 v2, 28, v3
	v_cmp_gt_i64_e32 vcc, 0, v[1:2]
	v_not_b32_e32 v2, v2
	v_ashrrev_i32_e32 v2, 31, v2
	v_and_b32_e32 v47, v47, v48
	;; [unrolled: 8-line block ×5, first 2 shown]
	v_xor_b32_e32 v48, vcc_hi, v2
	v_xor_b32_e32 v2, vcc_lo, v2
	v_and_b32_e32 v4, v4, v2
	v_lshlrev_b32_e32 v2, 24, v3
	v_cmp_gt_i64_e32 vcc, 0, v[1:2]
	v_not_b32_e32 v2, v2
	v_ashrrev_i32_e32 v2, 31, v2
	v_mad_u32_u24 v46, v3, 20, v20
	v_xor_b32_e32 v3, vcc_hi, v2
	v_xor_b32_e32 v2, vcc_lo, v2
	; wave barrier
	ds_read_b32 v45, v46 offset:16
	v_and_b32_e32 v47, v47, v48
	v_and_b32_e32 v2, v4, v2
	;; [unrolled: 1-line block ×3, first 2 shown]
	v_mbcnt_lo_u32_b32 v4, v2, 0
	v_mbcnt_hi_u32_b32 v48, v3, v4
	v_cmp_ne_u64_e32 vcc, 0, v[2:3]
	v_cmp_eq_u32_e64 s[0:1], 0, v48
	s_and_b64 s[2:3], vcc, s[0:1]
	; wave barrier
	s_and_saveexec_b64 s[0:1], s[2:3]
	s_cbranch_execz .LBB15_171
; %bb.170:
	v_bcnt_u32_b32 v2, v2, 0
	v_bcnt_u32_b32 v2, v3, v2
	s_waitcnt lgkmcnt(0)
	v_add_u32_e32 v2, v45, v2
	ds_write_b32 v46, v2 offset:16
.LBB15_171:
	s_or_b64 exec, exec, s[0:1]
	v_xor_b32_e32 v47, -1, v29
	v_lshrrev_b32_sdwa v2, s68, v47 dst_sel:DWORD dst_unused:UNUSED_PAD src0_sel:DWORD src1_sel:WORD_0
	v_and_b32_e32 v3, s9, v2
	v_and_b32_e32 v2, 1, v3
	v_add_co_u32_e32 v4, vcc, -1, v2
	v_addc_co_u32_e64 v50, s[0:1], 0, -1, vcc
	v_cmp_ne_u32_e32 vcc, 0, v2
	v_xor_b32_e32 v2, vcc_hi, v50
	v_and_b32_e32 v50, exec_hi, v2
	v_lshlrev_b32_e32 v2, 30, v3
	v_xor_b32_e32 v4, vcc_lo, v4
	v_cmp_gt_i64_e32 vcc, 0, v[1:2]
	v_not_b32_e32 v2, v2
	v_ashrrev_i32_e32 v2, 31, v2
	v_and_b32_e32 v4, exec_lo, v4
	v_xor_b32_e32 v51, vcc_hi, v2
	v_xor_b32_e32 v2, vcc_lo, v2
	v_and_b32_e32 v4, v4, v2
	v_lshlrev_b32_e32 v2, 29, v3
	v_cmp_gt_i64_e32 vcc, 0, v[1:2]
	v_not_b32_e32 v2, v2
	v_ashrrev_i32_e32 v2, 31, v2
	v_and_b32_e32 v50, v50, v51
	v_xor_b32_e32 v51, vcc_hi, v2
	v_xor_b32_e32 v2, vcc_lo, v2
	v_and_b32_e32 v4, v4, v2
	v_lshlrev_b32_e32 v2, 28, v3
	v_cmp_gt_i64_e32 vcc, 0, v[1:2]
	v_not_b32_e32 v2, v2
	v_ashrrev_i32_e32 v2, 31, v2
	v_and_b32_e32 v50, v50, v51
	;; [unrolled: 8-line block ×5, first 2 shown]
	v_xor_b32_e32 v51, vcc_hi, v2
	v_xor_b32_e32 v2, vcc_lo, v2
	v_and_b32_e32 v4, v4, v2
	v_lshlrev_b32_e32 v2, 24, v3
	v_cmp_gt_i64_e32 vcc, 0, v[1:2]
	v_not_b32_e32 v1, v2
	v_ashrrev_i32_e32 v1, 31, v1
	v_mad_u32_u24 v29, v3, 20, v20
	v_xor_b32_e32 v2, vcc_hi, v1
	v_xor_b32_e32 v1, vcc_lo, v1
	; wave barrier
	ds_read_b32 v49, v29 offset:16
	v_and_b32_e32 v50, v50, v51
	v_and_b32_e32 v1, v4, v1
	;; [unrolled: 1-line block ×3, first 2 shown]
	v_mbcnt_lo_u32_b32 v3, v1, 0
	v_mbcnt_hi_u32_b32 v51, v2, v3
	v_cmp_ne_u64_e32 vcc, 0, v[1:2]
	v_cmp_eq_u32_e64 s[0:1], 0, v51
	s_and_b64 s[2:3], vcc, s[0:1]
	; wave barrier
	s_and_saveexec_b64 s[0:1], s[2:3]
	s_cbranch_execz .LBB15_173
; %bb.172:
	v_bcnt_u32_b32 v1, v1, 0
	v_bcnt_u32_b32 v1, v2, v1
	s_waitcnt lgkmcnt(0)
	v_add_u32_e32 v1, v49, v1
	ds_write_b32 v29, v1 offset:16
.LBB15_173:
	s_or_b64 exec, exec, s[0:1]
	v_xor_b32_e32 v50, -1, v24
	v_lshrrev_b32_sdwa v1, s68, v50 dst_sel:DWORD dst_unused:UNUSED_PAD src0_sel:DWORD src1_sel:WORD_0
	v_and_b32_e32 v3, s9, v1
	v_and_b32_e32 v2, 1, v3
	v_add_co_u32_e32 v4, vcc, -1, v2
	v_addc_co_u32_e64 v53, s[0:1], 0, -1, vcc
	v_cmp_ne_u32_e32 vcc, 0, v2
	v_xor_b32_e32 v2, vcc_hi, v53
	v_mov_b32_e32 v1, 0
	v_and_b32_e32 v53, exec_hi, v2
	v_lshlrev_b32_e32 v2, 30, v3
	v_xor_b32_e32 v4, vcc_lo, v4
	v_cmp_gt_i64_e32 vcc, 0, v[1:2]
	v_not_b32_e32 v2, v2
	v_ashrrev_i32_e32 v2, 31, v2
	v_and_b32_e32 v4, exec_lo, v4
	v_xor_b32_e32 v54, vcc_hi, v2
	v_xor_b32_e32 v2, vcc_lo, v2
	v_and_b32_e32 v4, v4, v2
	v_lshlrev_b32_e32 v2, 29, v3
	v_cmp_gt_i64_e32 vcc, 0, v[1:2]
	v_not_b32_e32 v2, v2
	v_ashrrev_i32_e32 v2, 31, v2
	v_and_b32_e32 v53, v53, v54
	v_xor_b32_e32 v54, vcc_hi, v2
	v_xor_b32_e32 v2, vcc_lo, v2
	v_and_b32_e32 v4, v4, v2
	v_lshlrev_b32_e32 v2, 28, v3
	v_cmp_gt_i64_e32 vcc, 0, v[1:2]
	v_not_b32_e32 v2, v2
	v_ashrrev_i32_e32 v2, 31, v2
	v_and_b32_e32 v53, v53, v54
	;; [unrolled: 8-line block ×5, first 2 shown]
	v_xor_b32_e32 v54, vcc_hi, v2
	v_xor_b32_e32 v2, vcc_lo, v2
	v_and_b32_e32 v4, v4, v2
	v_lshlrev_b32_e32 v2, 24, v3
	v_cmp_gt_i64_e32 vcc, 0, v[1:2]
	v_not_b32_e32 v2, v2
	v_ashrrev_i32_e32 v2, 31, v2
	v_mad_u32_u24 v24, v3, 20, v20
	v_xor_b32_e32 v3, vcc_hi, v2
	v_xor_b32_e32 v2, vcc_lo, v2
	; wave barrier
	ds_read_b32 v52, v24 offset:16
	v_and_b32_e32 v53, v53, v54
	v_and_b32_e32 v2, v4, v2
	;; [unrolled: 1-line block ×3, first 2 shown]
	v_mbcnt_lo_u32_b32 v4, v2, 0
	v_mbcnt_hi_u32_b32 v54, v3, v4
	v_cmp_ne_u64_e32 vcc, 0, v[2:3]
	v_cmp_eq_u32_e64 s[0:1], 0, v54
	s_and_b64 s[2:3], vcc, s[0:1]
	; wave barrier
	s_and_saveexec_b64 s[0:1], s[2:3]
	s_cbranch_execz .LBB15_175
; %bb.174:
	v_bcnt_u32_b32 v2, v2, 0
	v_bcnt_u32_b32 v2, v3, v2
	s_waitcnt lgkmcnt(0)
	v_add_u32_e32 v2, v52, v2
	ds_write_b32 v24, v2 offset:16
.LBB15_175:
	s_or_b64 exec, exec, s[0:1]
	v_xor_b32_e32 v53, -1, v18
	v_lshrrev_b32_sdwa v2, s68, v53 dst_sel:DWORD dst_unused:UNUSED_PAD src0_sel:DWORD src1_sel:WORD_0
	v_and_b32_e32 v3, s9, v2
	v_and_b32_e32 v2, 1, v3
	v_add_co_u32_e32 v4, vcc, -1, v2
	v_mad_u32_u24 v18, v3, 20, v20
	v_addc_co_u32_e64 v20, s[0:1], 0, -1, vcc
	v_cmp_ne_u32_e32 vcc, 0, v2
	v_xor_b32_e32 v2, vcc_hi, v20
	v_and_b32_e32 v20, exec_hi, v2
	v_lshlrev_b32_e32 v2, 30, v3
	v_xor_b32_e32 v4, vcc_lo, v4
	v_cmp_gt_i64_e32 vcc, 0, v[1:2]
	v_not_b32_e32 v2, v2
	v_ashrrev_i32_e32 v2, 31, v2
	v_and_b32_e32 v4, exec_lo, v4
	v_xor_b32_e32 v56, vcc_hi, v2
	v_xor_b32_e32 v2, vcc_lo, v2
	v_and_b32_e32 v4, v4, v2
	v_lshlrev_b32_e32 v2, 29, v3
	v_cmp_gt_i64_e32 vcc, 0, v[1:2]
	v_not_b32_e32 v2, v2
	v_ashrrev_i32_e32 v2, 31, v2
	v_and_b32_e32 v20, v20, v56
	v_xor_b32_e32 v56, vcc_hi, v2
	v_xor_b32_e32 v2, vcc_lo, v2
	v_and_b32_e32 v4, v4, v2
	v_lshlrev_b32_e32 v2, 28, v3
	v_cmp_gt_i64_e32 vcc, 0, v[1:2]
	v_not_b32_e32 v2, v2
	v_ashrrev_i32_e32 v2, 31, v2
	v_and_b32_e32 v20, v20, v56
	;; [unrolled: 8-line block ×5, first 2 shown]
	v_xor_b32_e32 v56, vcc_hi, v2
	v_xor_b32_e32 v2, vcc_lo, v2
	v_and_b32_e32 v4, v4, v2
	v_lshlrev_b32_e32 v2, 24, v3
	v_cmp_gt_i64_e32 vcc, 0, v[1:2]
	v_not_b32_e32 v1, v2
	v_ashrrev_i32_e32 v1, 31, v1
	v_xor_b32_e32 v2, vcc_hi, v1
	v_xor_b32_e32 v1, vcc_lo, v1
	; wave barrier
	ds_read_b32 v55, v18 offset:16
	v_and_b32_e32 v20, v20, v56
	v_and_b32_e32 v1, v4, v1
	;; [unrolled: 1-line block ×3, first 2 shown]
	v_mbcnt_lo_u32_b32 v3, v1, 0
	v_mbcnt_hi_u32_b32 v56, v2, v3
	v_cmp_ne_u64_e32 vcc, 0, v[1:2]
	v_cmp_eq_u32_e64 s[0:1], 0, v56
	s_and_b64 s[2:3], vcc, s[0:1]
	; wave barrier
	s_and_saveexec_b64 s[0:1], s[2:3]
	s_cbranch_execz .LBB15_177
; %bb.176:
	v_bcnt_u32_b32 v1, v1, 0
	v_bcnt_u32_b32 v1, v2, v1
	s_waitcnt lgkmcnt(0)
	v_add_u32_e32 v1, v55, v1
	ds_write_b32 v18, v1 offset:16
.LBB15_177:
	s_or_b64 exec, exec, s[0:1]
	; wave barrier
	s_waitcnt lgkmcnt(0)
	s_barrier
	ds_read2_b32 v[3:4], v6 offset0:4 offset1:5
	ds_read2_b32 v[1:2], v6 offset0:6 offset1:7
	ds_read_b32 v20, v6 offset:32
	v_min_u32_e32 v9, 0xc0, v9
	v_or_b32_e32 v9, 63, v9
	s_waitcnt lgkmcnt(1)
	v_add3_u32 v57, v4, v3, v1
	s_waitcnt lgkmcnt(0)
	v_add3_u32 v20, v57, v2, v20
	v_and_b32_e32 v57, 15, v8
	v_cmp_ne_u32_e32 vcc, 0, v57
	v_mov_b32_dpp v58, v20 row_shr:1 row_mask:0xf bank_mask:0xf
	v_cndmask_b32_e32 v58, 0, v58, vcc
	v_add_u32_e32 v20, v58, v20
	v_cmp_lt_u32_e32 vcc, 1, v57
	s_nop 0
	v_mov_b32_dpp v58, v20 row_shr:2 row_mask:0xf bank_mask:0xf
	v_cndmask_b32_e32 v58, 0, v58, vcc
	v_add_u32_e32 v20, v20, v58
	v_cmp_lt_u32_e32 vcc, 3, v57
	s_nop 0
	;; [unrolled: 5-line block ×3, first 2 shown]
	v_mov_b32_dpp v58, v20 row_shr:8 row_mask:0xf bank_mask:0xf
	v_cndmask_b32_e32 v57, 0, v58, vcc
	v_add_u32_e32 v20, v20, v57
	v_bfe_i32 v58, v8, 4, 1
	v_cmp_lt_u32_e32 vcc, 31, v8
	v_mov_b32_dpp v57, v20 row_bcast:15 row_mask:0xf bank_mask:0xf
	v_and_b32_e32 v57, v58, v57
	v_add_u32_e32 v20, v20, v57
	s_nop 1
	v_mov_b32_dpp v57, v20 row_bcast:31 row_mask:0xf bank_mask:0xf
	v_cndmask_b32_e32 v57, 0, v57, vcc
	v_add_u32_e32 v20, v20, v57
	v_lshrrev_b32_e32 v57, 6, v0
	v_cmp_eq_u32_e32 vcc, v0, v9
	s_and_saveexec_b64 s[0:1], vcc
; %bb.178:
	v_lshlrev_b32_e32 v9, 2, v57
	ds_write_b32 v9, v20
; %bb.179:
	s_or_b64 exec, exec, s[0:1]
	v_cmp_gt_u32_e32 vcc, 4, v0
	s_waitcnt lgkmcnt(0)
	s_barrier
	s_and_saveexec_b64 s[0:1], vcc
	s_cbranch_execz .LBB15_181
; %bb.180:
	v_lshlrev_b32_e32 v9, 2, v0
	ds_read_b32 v58, v9
	v_and_b32_e32 v59, 3, v8
	v_cmp_ne_u32_e32 vcc, 0, v59
	s_waitcnt lgkmcnt(0)
	v_mov_b32_dpp v60, v58 row_shr:1 row_mask:0xf bank_mask:0xf
	v_cndmask_b32_e32 v60, 0, v60, vcc
	v_add_u32_e32 v58, v60, v58
	v_cmp_lt_u32_e32 vcc, 1, v59
	s_nop 0
	v_mov_b32_dpp v60, v58 row_shr:2 row_mask:0xf bank_mask:0xf
	v_cndmask_b32_e32 v59, 0, v60, vcc
	v_add_u32_e32 v58, v58, v59
	ds_write_b32 v9, v58
.LBB15_181:
	s_or_b64 exec, exec, s[0:1]
	v_cmp_lt_u32_e32 vcc, 63, v0
	v_mov_b32_e32 v9, 0
	s_waitcnt lgkmcnt(0)
	s_barrier
	s_and_saveexec_b64 s[0:1], vcc
; %bb.182:
	v_lshl_add_u32 v9, v57, 2, -4
	ds_read_b32 v9, v9
; %bb.183:
	s_or_b64 exec, exec, s[0:1]
	v_add_u32_e32 v57, -1, v8
	v_and_b32_e32 v58, 64, v8
	v_cmp_lt_i32_e32 vcc, v57, v58
	v_cndmask_b32_e32 v57, v57, v8, vcc
	s_waitcnt lgkmcnt(0)
	v_add_u32_e32 v20, v9, v20
	v_lshlrev_b32_e32 v57, 2, v57
	ds_bpermute_b32 v20, v57, v20
	v_cmp_eq_u32_e32 vcc, 0, v8
	s_movk_i32 s0, 0x100
	s_waitcnt lgkmcnt(0)
	v_cndmask_b32_e32 v9, v20, v9, vcc
	v_cmp_ne_u32_e32 vcc, 0, v0
	v_cndmask_b32_e32 v9, 0, v9, vcc
	v_add_u32_e32 v3, v9, v3
	v_add_u32_e32 v4, v3, v4
	;; [unrolled: 1-line block ×4, first 2 shown]
	ds_write2_b32 v6, v9, v3 offset0:4 offset1:5
	ds_write2_b32 v6, v4, v1 offset0:6 offset1:7
	ds_write_b32 v6, v2 offset:32
	s_waitcnt lgkmcnt(0)
	s_barrier
	ds_read_b32 v2, v43 offset:16
	ds_read_b32 v3, v46 offset:16
	ds_read_b32 v4, v29 offset:16
	ds_read_b32 v43, v24 offset:16
	ds_read_b32 v46, v18 offset:16
	ds_read_b32 v10, v10 offset:16
	ds_read_b32 v14, v14 offset:16
	ds_read_b32 v18, v19 offset:16
	ds_read_b32 v19, v25 offset:16
	ds_read_b32 v20, v30 offset:16
	ds_read_b32 v30, v35 offset:16
	ds_read_b32 v35, v40 offset:16
	ds_read_b32 v9, v6 offset:16
	v_add_u32_e32 v6, 1, v0
	v_cmp_ne_u32_e32 vcc, s0, v6
	v_mov_b32_e32 v1, 0xc00
	s_and_saveexec_b64 s[0:1], vcc
; %bb.184:
	v_mul_u32_u24_e32 v1, 20, v6
	ds_read_b32 v1, v1 offset:16
; %bb.185:
	s_or_b64 exec, exec, s[0:1]
	s_waitcnt lgkmcnt(7)
	v_add_u32_e32 v29, v10, v12
	s_waitcnt lgkmcnt(6)
	v_add3_u32 v25, v16, v13, v14
	s_waitcnt lgkmcnt(5)
	v_add3_u32 v24, v22, v17, v18
	v_add3_u32 v17, v44, v42, v2
	v_lshlrev_b32_e32 v2, 1, v29
	s_waitcnt lgkmcnt(0)
	s_barrier
	ds_write_b16 v2, v5 offset:2048
	v_lshlrev_b32_e32 v2, 1, v25
	v_add3_u32 v22, v27, v23, v19
	ds_write_b16 v2, v11 offset:2048
	v_lshlrev_b32_e32 v2, 1, v24
	v_add3_u32 v20, v32, v28, v20
	;; [unrolled: 3-line block ×4, first 2 shown]
	ds_write_b16 v2, v26 offset:2048
	v_lshlrev_b32_e32 v2, 1, v19
	ds_write_b16 v2, v31 offset:2048
	v_lshlrev_b32_e32 v2, 1, v18
	v_add3_u32 v16, v48, v45, v3
	ds_write_b16 v2, v36 offset:2048
	v_lshlrev_b32_e32 v2, 1, v17
	v_add3_u32 v14, v51, v49, v4
	;; [unrolled: 3-line block ×4, first 2 shown]
	ds_write_b16 v2, v47 offset:2048
	v_lshlrev_b32_e32 v2, 1, v13
	ds_write_b16 v2, v50 offset:2048
	v_lshlrev_b32_e32 v2, 1, v12
	ds_write_b16 v2, v53 offset:2048
	v_sub_u32_e32 v10, v1, v9
	v_lshl_or_b32 v1, s6, 8, v0
	v_mov_b32_e32 v2, 0
	v_lshlrev_b64 v[3:4], 2, v[1:2]
	v_mov_b32_e32 v11, s73
	v_add_co_u32_e32 v3, vcc, s72, v3
	v_addc_co_u32_e32 v4, vcc, v11, v4, vcc
	v_or_b32_e32 v1, 2.0, v10
	s_mov_b64 s[0:1], 0
	s_brev_b32 s10, -4
	v_mov_b32_e32 v15, 0
	s_waitcnt lgkmcnt(0)
	s_barrier
	global_store_dword v[3:4], v1, off
                                        ; implicit-def: $sgpr2_sgpr3
	s_branch .LBB15_188
.LBB15_186:                             ;   in Loop: Header=BB15_188 Depth=1
	s_or_b64 exec, exec, s[4:5]
.LBB15_187:                             ;   in Loop: Header=BB15_188 Depth=1
	s_or_b64 exec, exec, s[2:3]
	v_and_b32_e32 v5, 0x3fffffff, v1
	v_add_u32_e32 v15, v5, v15
	v_cmp_gt_i32_e64 s[2:3], -2.0, v1
	s_and_b64 s[4:5], exec, s[2:3]
	s_or_b64 s[0:1], s[4:5], s[0:1]
	s_andn2_b64 exec, exec, s[0:1]
	s_cbranch_execz .LBB15_193
.LBB15_188:                             ; =>This Loop Header: Depth=1
                                        ;     Child Loop BB15_191 Depth 2
	s_or_b64 s[2:3], s[2:3], exec
	s_cmp_eq_u32 s7, 0
	s_cbranch_scc1 .LBB15_192
; %bb.189:                              ;   in Loop: Header=BB15_188 Depth=1
	s_add_i32 s7, s7, -1
	v_lshl_or_b32 v1, s7, 8, v0
	v_lshlrev_b64 v[5:6], 2, v[1:2]
	v_add_co_u32_e32 v5, vcc, s72, v5
	v_addc_co_u32_e32 v6, vcc, v11, v6, vcc
	global_load_dword v1, v[5:6], off glc
	s_waitcnt vmcnt(0)
	v_cmp_gt_u32_e32 vcc, 2.0, v1
	s_and_saveexec_b64 s[2:3], vcc
	s_cbranch_execz .LBB15_187
; %bb.190:                              ;   in Loop: Header=BB15_188 Depth=1
	s_mov_b64 s[4:5], 0
.LBB15_191:                             ;   Parent Loop BB15_188 Depth=1
                                        ; =>  This Inner Loop Header: Depth=2
	global_load_dword v1, v[5:6], off glc
	s_waitcnt vmcnt(0)
	v_cmp_lt_u32_e32 vcc, s10, v1
	s_or_b64 s[4:5], vcc, s[4:5]
	s_andn2_b64 exec, exec, s[4:5]
	s_cbranch_execnz .LBB15_191
	s_branch .LBB15_186
.LBB15_192:                             ;   in Loop: Header=BB15_188 Depth=1
                                        ; implicit-def: $sgpr7
	s_and_b64 s[4:5], exec, s[2:3]
	s_or_b64 s[0:1], s[4:5], s[0:1]
	s_andn2_b64 exec, exec, s[0:1]
	s_cbranch_execnz .LBB15_188
.LBB15_193:
	s_or_b64 exec, exec, s[0:1]
	v_add_u32_e32 v2, v15, v10
	v_or_b32_e32 v2, 0x80000000, v2
	v_lshlrev_b32_e32 v1, 3, v0
	global_store_dword v[3:4], v2, off
	global_load_dwordx2 v[2:3], v1, s[64:65]
	v_sub_co_u32_e32 v4, vcc, v15, v9
	v_subb_co_u32_e64 v5, s[0:1], 0, 0, vcc
	v_mad_i32_i24 v52, v0, -6, v1
	v_mov_b32_e32 v6, s59
	v_mov_b32_e32 v15, s59
	;; [unrolled: 1-line block ×4, first 2 shown]
	v_lshlrev_b32_e32 v11, 1, v0
	v_mov_b32_e32 v28, s59
	s_lshl_b64 s[0:1], s[54:55], 3
	s_add_u32 s0, s60, s0
	s_addc_u32 s1, s61, s1
	v_or_b32_e32 v61, 0x800, v0
	v_or_b32_e32 v65, 0xa00, v0
	s_add_i32 s8, s8, -1
	s_cmp_lg_u32 s6, s8
	s_waitcnt vmcnt(0)
	v_add_co_u32_e32 v2, vcc, v4, v2
	v_addc_co_u32_e32 v3, vcc, v5, v3, vcc
	ds_write_b64 v1, v[2:3]
	s_waitcnt lgkmcnt(0)
	s_barrier
	ds_read_u16 v2, v52 offset:2048
	ds_read_u16 v3, v52 offset:2560
	;; [unrolled: 1-line block ×8, first 2 shown]
	s_waitcnt lgkmcnt(7)
	v_lshrrev_b32_sdwa v27, s68, v2 dst_sel:DWORD dst_unused:UNUSED_PAD src0_sel:DWORD src1_sel:WORD_0
	v_xor_b32_e32 v37, -1, v2
	s_waitcnt lgkmcnt(6)
	v_lshrrev_b32_sdwa v2, s68, v3 dst_sel:DWORD dst_unused:UNUSED_PAD src0_sel:DWORD src1_sel:WORD_0
	v_xor_b32_e32 v38, -1, v3
	;; [unrolled: 3-line block ×4, first 2 shown]
	s_waitcnt lgkmcnt(3)
	v_lshrrev_b32_sdwa v5, s68, v26 dst_sel:DWORD dst_unused:UNUSED_PAD src0_sel:DWORD src1_sel:WORD_0
	v_and_b32_e32 v2, s9, v2
	v_xor_b32_e32 v41, -1, v26
	v_and_b32_e32 v26, s9, v27
	v_and_b32_e32 v3, s9, v3
	;; [unrolled: 1-line block ×4, first 2 shown]
	v_lshlrev_b32_e32 v54, 3, v2
	v_lshlrev_b32_e32 v53, 3, v26
	;; [unrolled: 1-line block ×5, first 2 shown]
	ds_read_b64 v[2:3], v54
	ds_read_b64 v[4:5], v55
	;; [unrolled: 1-line block ×5, first 2 shown]
	ds_read_u16 v42, v52 offset:6144
	ds_read_u16 v46, v52 offset:6656
	;; [unrolled: 1-line block ×4, first 2 shown]
	s_waitcnt lgkmcnt(4)
	v_lshlrev_b64 v[32:33], 1, v[32:33]
	v_lshlrev_b64 v[2:3], 1, v[2:3]
	v_add_co_u32_e32 v32, vcc, s58, v32
	v_addc_co_u32_e32 v6, vcc, v6, v33, vcc
	v_lshlrev_b64 v[4:5], 1, v[4:5]
	v_add_co_u32_e32 v33, vcc, s58, v2
	v_addc_co_u32_e32 v15, vcc, v15, v3, vcc
	;; [unrolled: 3-line block ×3, first 2 shown]
	v_add_co_u32_e32 v44, vcc, s58, v26
	v_addc_co_u32_e32 v23, vcc, v23, v27, vcc
	v_add_co_u32_e32 v2, vcc, v32, v11
	v_addc_co_u32_e32 v3, vcc, 0, v6, vcc
	;; [unrolled: 2-line block ×4, first 2 shown]
	v_lshlrev_b64 v[30:31], 1, v[30:31]
	v_add_co_u32_e32 v32, vcc, v44, v11
	v_addc_co_u32_e32 v33, vcc, 0, v23, vcc
	global_store_short v[2:3], v37, off
	global_store_short v[4:5], v38, off offset:512
	global_store_short v[26:27], v39, off offset:1024
	;; [unrolled: 1-line block ×3, first 2 shown]
	v_add_co_u32_e32 v2, vcc, s58, v30
	v_addc_co_u32_e32 v3, vcc, v28, v31, vcc
	v_add_co_u32_e32 v2, vcc, v2, v11
	v_addc_co_u32_e32 v3, vcc, 0, v3, vcc
	global_store_short v[2:3], v41, off offset:2048
	v_lshrrev_b32_sdwa v2, s68, v34 dst_sel:DWORD dst_unused:UNUSED_PAD src0_sel:DWORD src1_sel:WORD_0
	v_and_b32_e32 v2, s9, v2
	v_lshlrev_b32_e32 v21, 3, v2
	ds_read_b64 v[2:3], v21
	v_lshrrev_b32_sdwa v4, s68, v35 dst_sel:DWORD dst_unused:UNUSED_PAD src0_sel:DWORD src1_sel:WORD_0
	v_and_b32_e32 v4, s9, v4
	v_lshlrev_b32_e32 v23, 3, v4
	v_lshrrev_b32_sdwa v4, s68, v36 dst_sel:DWORD dst_unused:UNUSED_PAD src0_sel:DWORD src1_sel:WORD_0
	v_and_b32_e32 v4, s9, v4
	s_waitcnt lgkmcnt(0)
	v_lshlrev_b64 v[2:3], 1, v[2:3]
	v_lshlrev_b32_e32 v28, 3, v4
	v_lshrrev_b32_sdwa v4, s68, v42 dst_sel:DWORD dst_unused:UNUSED_PAD src0_sel:DWORD src1_sel:WORD_0
	v_and_b32_e32 v4, s9, v4
	v_mov_b32_e32 v15, s59
	v_add_co_u32_e32 v2, vcc, s58, v2
	v_lshlrev_b32_e32 v60, 3, v4
	ds_read_b64 v[4:5], v23
	ds_read_b64 v[26:27], v28
	ds_read_b64 v[30:31], v60
	v_addc_co_u32_e32 v3, vcc, v15, v3, vcc
	v_add_co_u32_e32 v2, vcc, v2, v11
	v_xor_b32_e32 v6, -1, v34
	v_addc_co_u32_e32 v3, vcc, 0, v3, vcc
	global_store_short v[2:3], v6, off offset:2560
	s_waitcnt lgkmcnt(2)
	v_lshlrev_b64 v[2:3], 1, v[4:5]
	v_mov_b32_e32 v4, s59
	v_add_co_u32_e32 v2, vcc, s58, v2
	v_addc_co_u32_e32 v3, vcc, v4, v3, vcc
	v_add_co_u32_e32 v2, vcc, v2, v11
	v_xor_b32_e32 v6, -1, v35
	v_addc_co_u32_e32 v3, vcc, 0, v3, vcc
	global_store_short v[2:3], v6, off offset:3072
	s_waitcnt lgkmcnt(1)
	v_lshlrev_b64 v[2:3], 1, v[26:27]
	v_mov_b32_e32 v5, s59
	v_add_co_u32_e32 v2, vcc, s58, v2
	;; [unrolled: 9-line block ×3, first 2 shown]
	v_addc_co_u32_e32 v43, vcc, v4, v3, vcc
	v_lshlrev_b32_e32 v2, 3, v8
	v_mov_b32_e32 v3, s1
	v_add_co_u32_e32 v2, vcc, s0, v2
	v_addc_co_u32_e32 v3, vcc, 0, v3, vcc
	v_lshlrev_b32_e32 v4, 3, v7
	v_add_co_u32_e32 v2, vcc, v2, v4
	v_addc_co_u32_e32 v3, vcc, 0, v3, vcc
	s_movk_i32 s0, 0x1000
	global_load_dwordx2 v[4:5], v[2:3], off
	global_load_dwordx2 v[6:7], v[2:3], off offset:512
	global_load_dwordx2 v[26:27], v[2:3], off offset:1024
	;; [unrolled: 1-line block ×7, first 2 shown]
	v_add_co_u32_e32 v2, vcc, s0, v2
	v_xor_b32_e32 v11, -1, v42
	v_lshlrev_b32_e32 v42, 1, v61
	v_addc_co_u32_e32 v3, vcc, 0, v3, vcc
	global_load_dwordx2 v[40:41], v[2:3], off
	global_load_dwordx2 v[44:45], v[2:3], off offset:512
	v_add_co_u32_e32 v42, vcc, v15, v42
	v_addc_co_u32_e32 v43, vcc, 0, v43, vcc
	global_store_short v[42:43], v11, off
	global_load_dwordx2 v[42:43], v[2:3], off offset:1024
	v_lshrrev_b32_sdwa v11, s68, v46 dst_sel:DWORD dst_unused:UNUSED_PAD src0_sel:DWORD src1_sel:WORD_0
	global_load_dwordx2 v[2:3], v[2:3], off offset:1536
	v_and_b32_e32 v11, s9, v11
	v_lshlrev_b32_e32 v62, 3, v11
	v_xor_b32_e32 v15, -1, v46
	ds_read_b64 v[46:47], v62
	v_lshrrev_b32_sdwa v11, s68, v58 dst_sel:DWORD dst_unused:UNUSED_PAD src0_sel:DWORD src1_sel:WORD_0
	v_and_b32_e32 v11, s9, v11
	v_lshlrev_b32_e32 v63, 3, v11
	v_lshrrev_b32_sdwa v11, s68, v59 dst_sel:DWORD dst_unused:UNUSED_PAD src0_sel:DWORD src1_sel:WORD_0
	s_waitcnt lgkmcnt(0)
	v_lshlrev_b64 v[46:47], 1, v[46:47]
	v_and_b32_e32 v11, s9, v11
	v_or_b32_e32 v8, 0x900, v0
	v_lshlrev_b32_e32 v64, 3, v11
	ds_read_b64 v[48:49], v63
	ds_read_b64 v[50:51], v64
	v_mov_b32_e32 v11, s59
	v_add_co_u32_e32 v46, vcc, s58, v46
	v_addc_co_u32_e32 v11, vcc, v11, v47, vcc
	v_lshlrev_b32_e32 v47, 1, v8
	v_add_co_u32_e32 v46, vcc, v46, v47
	v_addc_co_u32_e32 v47, vcc, 0, v11, vcc
	global_store_short v[46:47], v15, off
	s_waitcnt lgkmcnt(1)
	v_lshlrev_b64 v[46:47], 1, v[48:49]
	v_mov_b32_e32 v15, s59
	v_add_co_u32_e32 v46, vcc, s58, v46
	v_addc_co_u32_e32 v15, vcc, v15, v47, vcc
	v_lshlrev_b32_e32 v47, 1, v65
	v_add_co_u32_e32 v46, vcc, v46, v47
	v_xor_b32_e32 v11, -1, v58
	v_addc_co_u32_e32 v47, vcc, 0, v15, vcc
	global_store_short v[46:47], v11, off
	s_waitcnt lgkmcnt(0)
	v_lshlrev_b64 v[46:47], 1, v[50:51]
	v_or_b32_e32 v48, 0xb00, v0
	v_mov_b32_e32 v15, s59
	v_add_co_u32_e32 v46, vcc, s58, v46
	v_addc_co_u32_e32 v15, vcc, v15, v47, vcc
	v_lshlrev_b32_e32 v47, 1, v48
	v_add_co_u32_e32 v46, vcc, v46, v47
	v_xor_b32_e32 v11, -1, v59
	v_addc_co_u32_e32 v47, vcc, 0, v15, vcc
	global_store_short v[46:47], v11, off
	v_lshlrev_b32_e32 v11, 3, v29
	s_waitcnt vmcnt(0)
	s_barrier
	v_mad_u32_u24 v0, v0, 6, v52
	ds_write_b64 v11, v[4:5] offset:2048
	v_lshlrev_b32_e32 v4, 3, v25
	ds_write_b64 v4, v[6:7] offset:2048
	v_lshlrev_b32_e32 v4, 3, v24
	;; [unrolled: 2-line block ×10, first 2 shown]
	v_mov_b32_e32 v17, s63
	ds_write_b64 v4, v[42:43] offset:2048
	v_lshlrev_b32_e32 v4, 3, v12
	ds_write_b64 v4, v[2:3] offset:2048
	s_waitcnt lgkmcnt(0)
	s_barrier
	ds_read_b64 v[6:7], v53
	ds_read2st64_b64 v[2:5], v0 offset0:4 offset1:8
	ds_read_b64 v[11:12], v54
	ds_read_b64 v[13:14], v55
	ds_read_b64 v[15:16], v56
	s_waitcnt lgkmcnt(4)
	v_lshlrev_b64 v[6:7], 3, v[6:7]
	v_add_co_u32_e32 v6, vcc, s62, v6
	v_addc_co_u32_e32 v7, vcc, v17, v7, vcc
	v_add_co_u32_e32 v6, vcc, v6, v1
	v_addc_co_u32_e32 v7, vcc, 0, v7, vcc
	s_waitcnt lgkmcnt(3)
	global_store_dwordx2 v[6:7], v[2:3], off
	s_waitcnt lgkmcnt(2)
	v_lshlrev_b64 v[2:3], 3, v[11:12]
	v_mov_b32_e32 v6, s63
	v_add_co_u32_e32 v2, vcc, s62, v2
	v_addc_co_u32_e32 v3, vcc, v6, v3, vcc
	v_add_co_u32_e32 v2, vcc, v2, v1
	v_addc_co_u32_e32 v3, vcc, 0, v3, vcc
	s_waitcnt lgkmcnt(1)
	v_lshlrev_b64 v[6:7], 3, v[13:14]
	global_store_dwordx2 v[2:3], v[4:5], off offset:2048
	ds_read2st64_b64 v[2:5], v0 offset0:12 offset1:16
	v_mov_b32_e32 v11, s63
	v_add_co_u32_e32 v6, vcc, s62, v6
	v_addc_co_u32_e32 v7, vcc, v11, v7, vcc
	v_or_b32_e32 v11, 0x1000, v1
	v_add_co_u32_e32 v6, vcc, v6, v11
	v_addc_co_u32_e32 v7, vcc, 0, v7, vcc
	s_waitcnt lgkmcnt(0)
	global_store_dwordx2 v[6:7], v[2:3], off
	v_lshlrev_b64 v[2:3], 3, v[15:16]
	v_mov_b32_e32 v6, s63
	v_add_co_u32_e32 v2, vcc, s62, v2
	v_addc_co_u32_e32 v3, vcc, v6, v3, vcc
	v_or_b32_e32 v6, 0x1800, v1
	v_add_co_u32_e32 v2, vcc, v2, v6
	v_addc_co_u32_e32 v3, vcc, 0, v3, vcc
	global_store_dwordx2 v[2:3], v[4:5], off
	ds_read_b64 v[6:7], v57
	ds_read2st64_b64 v[2:5], v0 offset0:20 offset1:24
	ds_read_b64 v[11:12], v21
	ds_read_b64 v[13:14], v23
	;; [unrolled: 1-line block ×3, first 2 shown]
	s_waitcnt lgkmcnt(4)
	v_lshlrev_b64 v[6:7], 3, v[6:7]
	v_add_co_u32_e32 v6, vcc, s62, v6
	v_addc_co_u32_e32 v7, vcc, v17, v7, vcc
	v_or_b32_e32 v17, 0x2000, v1
	v_add_co_u32_e32 v6, vcc, v6, v17
	v_addc_co_u32_e32 v7, vcc, 0, v7, vcc
	s_waitcnt lgkmcnt(3)
	global_store_dwordx2 v[6:7], v[2:3], off
	s_waitcnt lgkmcnt(2)
	v_lshlrev_b64 v[2:3], 3, v[11:12]
	v_mov_b32_e32 v6, s63
	v_add_co_u32_e32 v2, vcc, s62, v2
	v_addc_co_u32_e32 v3, vcc, v6, v3, vcc
	v_or_b32_e32 v6, 0x2800, v1
	v_add_co_u32_e32 v2, vcc, v2, v6
	v_addc_co_u32_e32 v3, vcc, 0, v3, vcc
	s_waitcnt lgkmcnt(1)
	v_lshlrev_b64 v[6:7], 3, v[13:14]
	global_store_dwordx2 v[2:3], v[4:5], off
	ds_read2st64_b64 v[2:5], v0 offset0:28 offset1:32
	v_mov_b32_e32 v11, s63
	v_add_co_u32_e32 v6, vcc, s62, v6
	v_addc_co_u32_e32 v7, vcc, v11, v7, vcc
	v_or_b32_e32 v11, 0x3000, v1
	v_add_co_u32_e32 v6, vcc, v6, v11
	v_addc_co_u32_e32 v7, vcc, 0, v7, vcc
	s_waitcnt lgkmcnt(0)
	global_store_dwordx2 v[6:7], v[2:3], off
	v_lshlrev_b64 v[2:3], 3, v[15:16]
	v_mov_b32_e32 v6, s63
	v_add_co_u32_e32 v2, vcc, s62, v2
	v_addc_co_u32_e32 v3, vcc, v6, v3, vcc
	v_or_b32_e32 v6, 0x3800, v1
	v_add_co_u32_e32 v2, vcc, v2, v6
	v_addc_co_u32_e32 v3, vcc, 0, v3, vcc
	global_store_dwordx2 v[2:3], v[4:5], off
	ds_read_b64 v[6:7], v60
	ds_read2st64_b64 v[2:5], v0 offset0:36 offset1:40
	ds_read_b64 v[11:12], v62
	ds_read_b64 v[13:14], v63
	;; [unrolled: 1-line block ×3, first 2 shown]
	s_waitcnt lgkmcnt(4)
	v_lshlrev_b64 v[6:7], 3, v[6:7]
	v_mov_b32_e32 v17, s63
	v_add_co_u32_e32 v6, vcc, s62, v6
	v_addc_co_u32_e32 v7, vcc, v17, v7, vcc
	v_lshlrev_b32_e32 v17, 3, v61
	v_add_co_u32_e32 v6, vcc, v6, v17
	v_addc_co_u32_e32 v7, vcc, 0, v7, vcc
	s_waitcnt lgkmcnt(3)
	global_store_dwordx2 v[6:7], v[2:3], off
	s_waitcnt lgkmcnt(2)
	v_lshlrev_b64 v[2:3], 3, v[11:12]
	v_mov_b32_e32 v6, s63
	v_add_co_u32_e32 v2, vcc, s62, v2
	v_addc_co_u32_e32 v3, vcc, v6, v3, vcc
	v_lshlrev_b32_e32 v6, 3, v8
	v_add_co_u32_e32 v2, vcc, v2, v6
	v_addc_co_u32_e32 v3, vcc, 0, v3, vcc
	s_waitcnt lgkmcnt(1)
	v_lshlrev_b64 v[6:7], 3, v[13:14]
	global_store_dwordx2 v[2:3], v[4:5], off
	ds_read2st64_b64 v[2:5], v0 offset0:44 offset1:48
	v_mov_b32_e32 v0, s63
	v_add_co_u32_e32 v6, vcc, s62, v6
	v_addc_co_u32_e32 v0, vcc, v0, v7, vcc
	v_lshlrev_b32_e32 v7, 3, v65
	v_add_co_u32_e32 v6, vcc, v6, v7
	v_addc_co_u32_e32 v7, vcc, 0, v0, vcc
	s_waitcnt lgkmcnt(0)
	global_store_dwordx2 v[6:7], v[2:3], off
	v_lshlrev_b64 v[2:3], 3, v[15:16]
	v_mov_b32_e32 v0, s63
	v_add_co_u32_e32 v2, vcc, s62, v2
	v_addc_co_u32_e32 v0, vcc, v0, v3, vcc
	v_lshlrev_b32_e32 v3, 3, v48
	v_add_co_u32_e32 v2, vcc, v2, v3
	v_addc_co_u32_e32 v3, vcc, 0, v0, vcc
	global_store_dwordx2 v[2:3], v[4:5], off
	s_cbranch_scc1 .LBB15_195
; %bb.194:
	ds_read_b64 v[2:3], v1
	v_add_co_u32_e32 v0, vcc, v10, v9
	v_addc_co_u32_e64 v4, s[0:1], 0, 0, vcc
	s_waitcnt lgkmcnt(0)
	v_add_co_u32_e32 v2, vcc, v0, v2
	v_addc_co_u32_e32 v3, vcc, v4, v3, vcc
	global_store_dwordx2 v1, v[2:3], s[66:67]
.LBB15_195:
	s_endpgm
.LBB15_196:
	s_or_b64 exec, exec, s[0:1]
	s_and_saveexec_b64 s[0:1], s[26:27]
	s_cbranch_execz .LBB15_139
.LBB15_197:
	v_lshlrev_b32_e32 v3, 3, v62
	ds_read_b64 v[3:4], v3
	ds_read_b64 v[5:6], v32 offset:4096
	v_mov_b32_e32 v7, s63
	s_waitcnt lgkmcnt(1)
	v_lshlrev_b64 v[3:4], 3, v[3:4]
	v_add_co_u32_e32 v3, vcc, s62, v3
	v_addc_co_u32_e32 v4, vcc, v7, v4, vcc
	v_add_co_u32_e32 v3, vcc, v3, v32
	v_addc_co_u32_e32 v4, vcc, 0, v4, vcc
	s_waitcnt lgkmcnt(0)
	global_store_dwordx2 v[3:4], v[5:6], off offset:2048
	s_or_b64 exec, exec, s[0:1]
	s_and_saveexec_b64 s[0:1], s[28:29]
	s_cbranch_execnz .LBB15_140
.LBB15_198:
	s_or_b64 exec, exec, s[0:1]
	s_and_saveexec_b64 s[0:1], s[30:31]
	s_cbranch_execz .LBB15_141
.LBB15_199:
	v_lshlrev_b32_e32 v3, 3, v60
	ds_read_b64 v[3:4], v3
	ds_read_b64 v[5:6], v32 offset:8192
	v_mov_b32_e32 v7, s63
	s_waitcnt lgkmcnt(1)
	v_lshlrev_b64 v[3:4], 3, v[3:4]
	v_add_co_u32_e32 v3, vcc, s62, v3
	v_addc_co_u32_e32 v4, vcc, v7, v4, vcc
	v_lshlrev_b32_e32 v7, 3, v46
	v_add_co_u32_e32 v3, vcc, v3, v7
	v_addc_co_u32_e32 v4, vcc, 0, v4, vcc
	s_waitcnt lgkmcnt(0)
	global_store_dwordx2 v[3:4], v[5:6], off
	s_or_b64 exec, exec, s[0:1]
	s_and_saveexec_b64 s[0:1], s[34:35]
	s_cbranch_execnz .LBB15_142
.LBB15_200:
	s_or_b64 exec, exec, s[0:1]
	s_and_saveexec_b64 s[0:1], s[36:37]
	s_cbranch_execz .LBB15_143
.LBB15_201:
	v_lshlrev_b32_e32 v3, 3, v58
	ds_read_b64 v[3:4], v3
	ds_read_b64 v[5:6], v32 offset:12288
	v_mov_b32_e32 v7, s63
	s_waitcnt lgkmcnt(1)
	v_lshlrev_b64 v[3:4], 3, v[3:4]
	v_add_co_u32_e32 v3, vcc, s62, v3
	v_addc_co_u32_e32 v4, vcc, v7, v4, vcc
	v_lshlrev_b32_e32 v7, 3, v48
	v_add_co_u32_e32 v3, vcc, v3, v7
	v_addc_co_u32_e32 v4, vcc, 0, v4, vcc
	s_waitcnt lgkmcnt(0)
	global_store_dwordx2 v[3:4], v[5:6], off
	s_or_b64 exec, exec, s[0:1]
	s_and_saveexec_b64 s[0:1], s[38:39]
	s_cbranch_execnz .LBB15_144
.LBB15_202:
	s_or_b64 exec, exec, s[0:1]
	s_and_saveexec_b64 s[0:1], s[40:41]
	s_cbranch_execz .LBB15_145
.LBB15_203:
	v_lshlrev_b32_e32 v3, 3, v56
	ds_read_b64 v[3:4], v3
	ds_read_b64 v[5:6], v32 offset:16384
	v_mov_b32_e32 v7, s63
	s_waitcnt lgkmcnt(1)
	v_lshlrev_b64 v[3:4], 3, v[3:4]
	v_add_co_u32_e32 v3, vcc, s62, v3
	v_addc_co_u32_e32 v4, vcc, v7, v4, vcc
	v_lshlrev_b32_e32 v7, 3, v50
	v_add_co_u32_e32 v3, vcc, v3, v7
	v_addc_co_u32_e32 v4, vcc, 0, v4, vcc
	s_waitcnt lgkmcnt(0)
	global_store_dwordx2 v[3:4], v[5:6], off
	s_or_b64 exec, exec, s[0:1]
	s_and_saveexec_b64 s[0:1], s[42:43]
	s_cbranch_execnz .LBB15_146
.LBB15_204:
	s_or_b64 exec, exec, s[0:1]
	s_and_saveexec_b64 s[0:1], s[44:45]
	s_cbranch_execz .LBB15_147
.LBB15_205:
	v_lshlrev_b32_e32 v3, 3, v28
	ds_read_b64 v[3:4], v3
	ds_read_b64 v[5:6], v32 offset:20480
	v_mov_b32_e32 v7, s63
	s_waitcnt lgkmcnt(1)
	v_lshlrev_b64 v[3:4], 3, v[3:4]
	v_add_co_u32_e32 v3, vcc, s62, v3
	v_addc_co_u32_e32 v4, vcc, v7, v4, vcc
	v_lshlrev_b32_e32 v7, 3, v52
	v_add_co_u32_e32 v3, vcc, v3, v7
	v_addc_co_u32_e32 v4, vcc, 0, v4, vcc
	s_waitcnt lgkmcnt(0)
	global_store_dwordx2 v[3:4], v[5:6], off
	s_or_b64 exec, exec, s[0:1]
	s_and_saveexec_b64 s[0:1], s[46:47]
	s_cbranch_execnz .LBB15_148
.LBB15_206:
	s_or_b64 exec, exec, s[0:1]
	s_and_saveexec_b64 s[0:1], s[48:49]
	s_cbranch_execz .LBB15_149
.LBB15_207:
	v_lshlrev_b32_e32 v3, 3, v27
	ds_read_b64 v[3:4], v3
	ds_read_b64 v[5:6], v32 offset:24576
	v_mov_b32_e32 v7, s63
	s_waitcnt lgkmcnt(1)
	v_lshlrev_b64 v[3:4], 3, v[3:4]
	v_add_co_u32_e32 v3, vcc, s62, v3
	v_addc_co_u32_e32 v4, vcc, v7, v4, vcc
	v_lshlrev_b32_e32 v7, 3, v54
	v_add_co_u32_e32 v3, vcc, v3, v7
	v_addc_co_u32_e32 v4, vcc, 0, v4, vcc
	s_waitcnt lgkmcnt(0)
	global_store_dwordx2 v[3:4], v[5:6], off
	s_or_b64 exec, exec, s[0:1]
	s_add_i32 s33, s33, -1
	s_cmp_eq_u32 s6, s33
	s_cbranch_scc1 .LBB15_150
	s_branch .LBB15_151
	.section	.rodata,"a",@progbits
	.p2align	6, 0x0
	.amdhsa_kernel _ZN7rocprim17ROCPRIM_304000_NS6detail25onesweep_iteration_kernelINS1_34wrapped_radix_sort_onesweep_configINS0_14default_configEtN2at4cuda3cub6detail10OpaqueTypeILi8EEEEELb1EPtSC_PSA_SD_mNS0_19identity_decomposerEEEvT1_T2_T3_T4_jPT5_SK_PNS1_23onesweep_lookback_stateET6_jjj
		.amdhsa_group_segment_fixed_size 26624
		.amdhsa_private_segment_fixed_size 0
		.amdhsa_kernarg_size 336
		.amdhsa_user_sgpr_count 6
		.amdhsa_user_sgpr_private_segment_buffer 1
		.amdhsa_user_sgpr_dispatch_ptr 0
		.amdhsa_user_sgpr_queue_ptr 0
		.amdhsa_user_sgpr_kernarg_segment_ptr 1
		.amdhsa_user_sgpr_dispatch_id 0
		.amdhsa_user_sgpr_flat_scratch_init 0
		.amdhsa_user_sgpr_private_segment_size 0
		.amdhsa_uses_dynamic_stack 0
		.amdhsa_system_sgpr_private_segment_wavefront_offset 0
		.amdhsa_system_sgpr_workgroup_id_x 1
		.amdhsa_system_sgpr_workgroup_id_y 0
		.amdhsa_system_sgpr_workgroup_id_z 0
		.amdhsa_system_sgpr_workgroup_info 0
		.amdhsa_system_vgpr_workitem_id 2
		.amdhsa_next_free_vgpr 85
		.amdhsa_next_free_sgpr 98
		.amdhsa_reserve_vcc 1
		.amdhsa_reserve_flat_scratch 0
		.amdhsa_float_round_mode_32 0
		.amdhsa_float_round_mode_16_64 0
		.amdhsa_float_denorm_mode_32 3
		.amdhsa_float_denorm_mode_16_64 3
		.amdhsa_dx10_clamp 1
		.amdhsa_ieee_mode 1
		.amdhsa_fp16_overflow 0
		.amdhsa_exception_fp_ieee_invalid_op 0
		.amdhsa_exception_fp_denorm_src 0
		.amdhsa_exception_fp_ieee_div_zero 0
		.amdhsa_exception_fp_ieee_overflow 0
		.amdhsa_exception_fp_ieee_underflow 0
		.amdhsa_exception_fp_ieee_inexact 0
		.amdhsa_exception_int_div_zero 0
	.end_amdhsa_kernel
	.section	.text._ZN7rocprim17ROCPRIM_304000_NS6detail25onesweep_iteration_kernelINS1_34wrapped_radix_sort_onesweep_configINS0_14default_configEtN2at4cuda3cub6detail10OpaqueTypeILi8EEEEELb1EPtSC_PSA_SD_mNS0_19identity_decomposerEEEvT1_T2_T3_T4_jPT5_SK_PNS1_23onesweep_lookback_stateET6_jjj,"axG",@progbits,_ZN7rocprim17ROCPRIM_304000_NS6detail25onesweep_iteration_kernelINS1_34wrapped_radix_sort_onesweep_configINS0_14default_configEtN2at4cuda3cub6detail10OpaqueTypeILi8EEEEELb1EPtSC_PSA_SD_mNS0_19identity_decomposerEEEvT1_T2_T3_T4_jPT5_SK_PNS1_23onesweep_lookback_stateET6_jjj,comdat
.Lfunc_end15:
	.size	_ZN7rocprim17ROCPRIM_304000_NS6detail25onesweep_iteration_kernelINS1_34wrapped_radix_sort_onesweep_configINS0_14default_configEtN2at4cuda3cub6detail10OpaqueTypeILi8EEEEELb1EPtSC_PSA_SD_mNS0_19identity_decomposerEEEvT1_T2_T3_T4_jPT5_SK_PNS1_23onesweep_lookback_stateET6_jjj, .Lfunc_end15-_ZN7rocprim17ROCPRIM_304000_NS6detail25onesweep_iteration_kernelINS1_34wrapped_radix_sort_onesweep_configINS0_14default_configEtN2at4cuda3cub6detail10OpaqueTypeILi8EEEEELb1EPtSC_PSA_SD_mNS0_19identity_decomposerEEEvT1_T2_T3_T4_jPT5_SK_PNS1_23onesweep_lookback_stateET6_jjj
                                        ; -- End function
	.set _ZN7rocprim17ROCPRIM_304000_NS6detail25onesweep_iteration_kernelINS1_34wrapped_radix_sort_onesweep_configINS0_14default_configEtN2at4cuda3cub6detail10OpaqueTypeILi8EEEEELb1EPtSC_PSA_SD_mNS0_19identity_decomposerEEEvT1_T2_T3_T4_jPT5_SK_PNS1_23onesweep_lookback_stateET6_jjj.num_vgpr, 66
	.set _ZN7rocprim17ROCPRIM_304000_NS6detail25onesweep_iteration_kernelINS1_34wrapped_radix_sort_onesweep_configINS0_14default_configEtN2at4cuda3cub6detail10OpaqueTypeILi8EEEEELb1EPtSC_PSA_SD_mNS0_19identity_decomposerEEEvT1_T2_T3_T4_jPT5_SK_PNS1_23onesweep_lookback_stateET6_jjj.num_agpr, 0
	.set _ZN7rocprim17ROCPRIM_304000_NS6detail25onesweep_iteration_kernelINS1_34wrapped_radix_sort_onesweep_configINS0_14default_configEtN2at4cuda3cub6detail10OpaqueTypeILi8EEEEELb1EPtSC_PSA_SD_mNS0_19identity_decomposerEEEvT1_T2_T3_T4_jPT5_SK_PNS1_23onesweep_lookback_stateET6_jjj.numbered_sgpr, 75
	.set _ZN7rocprim17ROCPRIM_304000_NS6detail25onesweep_iteration_kernelINS1_34wrapped_radix_sort_onesweep_configINS0_14default_configEtN2at4cuda3cub6detail10OpaqueTypeILi8EEEEELb1EPtSC_PSA_SD_mNS0_19identity_decomposerEEEvT1_T2_T3_T4_jPT5_SK_PNS1_23onesweep_lookback_stateET6_jjj.num_named_barrier, 0
	.set _ZN7rocprim17ROCPRIM_304000_NS6detail25onesweep_iteration_kernelINS1_34wrapped_radix_sort_onesweep_configINS0_14default_configEtN2at4cuda3cub6detail10OpaqueTypeILi8EEEEELb1EPtSC_PSA_SD_mNS0_19identity_decomposerEEEvT1_T2_T3_T4_jPT5_SK_PNS1_23onesweep_lookback_stateET6_jjj.private_seg_size, 0
	.set _ZN7rocprim17ROCPRIM_304000_NS6detail25onesweep_iteration_kernelINS1_34wrapped_radix_sort_onesweep_configINS0_14default_configEtN2at4cuda3cub6detail10OpaqueTypeILi8EEEEELb1EPtSC_PSA_SD_mNS0_19identity_decomposerEEEvT1_T2_T3_T4_jPT5_SK_PNS1_23onesweep_lookback_stateET6_jjj.uses_vcc, 1
	.set _ZN7rocprim17ROCPRIM_304000_NS6detail25onesweep_iteration_kernelINS1_34wrapped_radix_sort_onesweep_configINS0_14default_configEtN2at4cuda3cub6detail10OpaqueTypeILi8EEEEELb1EPtSC_PSA_SD_mNS0_19identity_decomposerEEEvT1_T2_T3_T4_jPT5_SK_PNS1_23onesweep_lookback_stateET6_jjj.uses_flat_scratch, 0
	.set _ZN7rocprim17ROCPRIM_304000_NS6detail25onesweep_iteration_kernelINS1_34wrapped_radix_sort_onesweep_configINS0_14default_configEtN2at4cuda3cub6detail10OpaqueTypeILi8EEEEELb1EPtSC_PSA_SD_mNS0_19identity_decomposerEEEvT1_T2_T3_T4_jPT5_SK_PNS1_23onesweep_lookback_stateET6_jjj.has_dyn_sized_stack, 0
	.set _ZN7rocprim17ROCPRIM_304000_NS6detail25onesweep_iteration_kernelINS1_34wrapped_radix_sort_onesweep_configINS0_14default_configEtN2at4cuda3cub6detail10OpaqueTypeILi8EEEEELb1EPtSC_PSA_SD_mNS0_19identity_decomposerEEEvT1_T2_T3_T4_jPT5_SK_PNS1_23onesweep_lookback_stateET6_jjj.has_recursion, 0
	.set _ZN7rocprim17ROCPRIM_304000_NS6detail25onesweep_iteration_kernelINS1_34wrapped_radix_sort_onesweep_configINS0_14default_configEtN2at4cuda3cub6detail10OpaqueTypeILi8EEEEELb1EPtSC_PSA_SD_mNS0_19identity_decomposerEEEvT1_T2_T3_T4_jPT5_SK_PNS1_23onesweep_lookback_stateET6_jjj.has_indirect_call, 0
	.section	.AMDGPU.csdata,"",@progbits
; Kernel info:
; codeLenInByte = 19212
; TotalNumSgprs: 79
; NumVgprs: 66
; ScratchSize: 0
; MemoryBound: 0
; FloatMode: 240
; IeeeMode: 1
; LDSByteSize: 26624 bytes/workgroup (compile time only)
; SGPRBlocks: 12
; VGPRBlocks: 21
; NumSGPRsForWavesPerEU: 102
; NumVGPRsForWavesPerEU: 85
; Occupancy: 2
; WaveLimiterHint : 1
; COMPUTE_PGM_RSRC2:SCRATCH_EN: 0
; COMPUTE_PGM_RSRC2:USER_SGPR: 6
; COMPUTE_PGM_RSRC2:TRAP_HANDLER: 0
; COMPUTE_PGM_RSRC2:TGID_X_EN: 1
; COMPUTE_PGM_RSRC2:TGID_Y_EN: 0
; COMPUTE_PGM_RSRC2:TGID_Z_EN: 0
; COMPUTE_PGM_RSRC2:TIDIG_COMP_CNT: 2
	.section	.text._ZN7rocprim17ROCPRIM_304000_NS6detail28radix_sort_block_sort_kernelINS1_36wrapped_radix_sort_block_sort_configINS0_13kernel_configILj256ELj4ELj4294967295EEEtN2at4cuda3cub6detail10OpaqueTypeILi8EEEEELb0EPKtPtPKSB_PSB_NS0_19identity_decomposerEEEvT1_T2_T3_T4_jT5_jj,"axG",@progbits,_ZN7rocprim17ROCPRIM_304000_NS6detail28radix_sort_block_sort_kernelINS1_36wrapped_radix_sort_block_sort_configINS0_13kernel_configILj256ELj4ELj4294967295EEEtN2at4cuda3cub6detail10OpaqueTypeILi8EEEEELb0EPKtPtPKSB_PSB_NS0_19identity_decomposerEEEvT1_T2_T3_T4_jT5_jj,comdat
	.protected	_ZN7rocprim17ROCPRIM_304000_NS6detail28radix_sort_block_sort_kernelINS1_36wrapped_radix_sort_block_sort_configINS0_13kernel_configILj256ELj4ELj4294967295EEEtN2at4cuda3cub6detail10OpaqueTypeILi8EEEEELb0EPKtPtPKSB_PSB_NS0_19identity_decomposerEEEvT1_T2_T3_T4_jT5_jj ; -- Begin function _ZN7rocprim17ROCPRIM_304000_NS6detail28radix_sort_block_sort_kernelINS1_36wrapped_radix_sort_block_sort_configINS0_13kernel_configILj256ELj4ELj4294967295EEEtN2at4cuda3cub6detail10OpaqueTypeILi8EEEEELb0EPKtPtPKSB_PSB_NS0_19identity_decomposerEEEvT1_T2_T3_T4_jT5_jj
	.globl	_ZN7rocprim17ROCPRIM_304000_NS6detail28radix_sort_block_sort_kernelINS1_36wrapped_radix_sort_block_sort_configINS0_13kernel_configILj256ELj4ELj4294967295EEEtN2at4cuda3cub6detail10OpaqueTypeILi8EEEEELb0EPKtPtPKSB_PSB_NS0_19identity_decomposerEEEvT1_T2_T3_T4_jT5_jj
	.p2align	8
	.type	_ZN7rocprim17ROCPRIM_304000_NS6detail28radix_sort_block_sort_kernelINS1_36wrapped_radix_sort_block_sort_configINS0_13kernel_configILj256ELj4ELj4294967295EEEtN2at4cuda3cub6detail10OpaqueTypeILi8EEEEELb0EPKtPtPKSB_PSB_NS0_19identity_decomposerEEEvT1_T2_T3_T4_jT5_jj,@function
_ZN7rocprim17ROCPRIM_304000_NS6detail28radix_sort_block_sort_kernelINS1_36wrapped_radix_sort_block_sort_configINS0_13kernel_configILj256ELj4ELj4294967295EEEtN2at4cuda3cub6detail10OpaqueTypeILi8EEEEELb0EPKtPtPKSB_PSB_NS0_19identity_decomposerEEEvT1_T2_T3_T4_jT5_jj: ; @_ZN7rocprim17ROCPRIM_304000_NS6detail28radix_sort_block_sort_kernelINS1_36wrapped_radix_sort_block_sort_configINS0_13kernel_configILj256ELj4ELj4294967295EEEtN2at4cuda3cub6detail10OpaqueTypeILi8EEEEELb0EPKtPtPKSB_PSB_NS0_19identity_decomposerEEEvT1_T2_T3_T4_jT5_jj
; %bb.0:
	s_load_dword s2, s[4:5], 0x20
	s_load_dwordx8 s[36:43], s[4:5], 0x0
	s_lshl_b32 s28, s6, 10
	s_mov_b32 s29, 0
	v_mbcnt_lo_u32_b32 v3, -1, 0
	s_waitcnt lgkmcnt(0)
	s_lshr_b32 s0, s2, 10
	s_cmp_lg_u32 s6, s0
	s_cselect_b64 s[30:31], -1, 0
	s_lshl_b64 s[34:35], s[28:29], 1
	s_add_u32 s1, s36, s34
	v_mbcnt_hi_u32_b32 v7, -1, v3
	s_addc_u32 s3, s37, s35
	v_lshlrev_b32_e32 v8, 2, v0
	v_lshlrev_b32_e32 v3, 1, v7
	v_and_b32_e32 v9, 0x300, v8
	v_mov_b32_e32 v4, s3
	v_add_co_u32_e32 v3, vcc, s1, v3
	v_addc_co_u32_e32 v4, vcc, 0, v4, vcc
	v_lshlrev_b32_e32 v5, 1, v9
	v_add_co_u32_e32 v5, vcc, v3, v5
	s_cmp_eq_u32 s6, s0
	v_addc_co_u32_e32 v6, vcc, 0, v4, vcc
	v_lshlrev_b32_e32 v14, 3, v7
	v_lshlrev_b32_e32 v13, 3, v9
	v_add_u32_e32 v10, v7, v9
	s_cbranch_scc1 .LBB16_2
; %bb.1:
	s_lshl_b64 s[0:1], s[28:29], 3
	s_add_u32 s0, s40, s0
	s_addc_u32 s1, s41, s1
	v_mov_b32_e32 v3, s1
	v_add_co_u32_e32 v4, vcc, s0, v14
	v_addc_co_u32_e32 v17, vcc, 0, v3, vcc
	v_add_co_u32_e32 v3, vcc, v4, v13
	v_addc_co_u32_e32 v4, vcc, 0, v17, vcc
	global_load_ushort v11, v[5:6], off
	global_load_ushort v12, v[5:6], off offset:128
	global_load_ushort v15, v[5:6], off offset:256
	;; [unrolled: 1-line block ×3, first 2 shown]
	global_load_dwordx2 v[21:22], v[3:4], off
	global_load_dwordx2 v[23:24], v[3:4], off offset:512
	global_load_dwordx2 v[25:26], v[3:4], off offset:1024
	;; [unrolled: 1-line block ×3, first 2 shown]
	s_mov_b32 s0, 0x5040100
	s_waitcnt vmcnt(6)
	v_perm_b32 v3, v12, v11, s0
	s_waitcnt vmcnt(4)
	v_perm_b32 v4, v16, v15, s0
	v_add_u32_e32 v15, v7, v9
	v_add_u32_e32 v9, 64, v15
	;; [unrolled: 1-line block ×4, first 2 shown]
	s_sub_i32 s33, s2, s28
	s_cbranch_execz .LBB16_3
	s_branch .LBB16_17
.LBB16_2:
                                        ; implicit-def: $vgpr3_vgpr4
                                        ; implicit-def: $vgpr21_vgpr22
                                        ; implicit-def: $vgpr23_vgpr24
                                        ; implicit-def: $vgpr25_vgpr26
                                        ; implicit-def: $vgpr27_vgpr28
                                        ; implicit-def: $vgpr15
                                        ; implicit-def: $vgpr9
                                        ; implicit-def: $vgpr11
                                        ; implicit-def: $vgpr12
	s_sub_i32 s33, s2, s28
.LBB16_3:
	v_mov_b32_e32 v3, -1
	v_cmp_gt_u32_e32 vcc, s33, v10
	v_mov_b32_e32 v4, v3
	s_and_saveexec_b64 s[0:1], vcc
	s_cbranch_execz .LBB16_5
; %bb.4:
	global_load_ushort v4, v[5:6], off
	v_mov_b32_e32 v9, 0x5040100
	v_mov_b32_e32 v12, v3
	s_waitcnt vmcnt(0)
	v_perm_b32 v11, -1, v4, v9
	v_mov_b32_e32 v3, v11
	v_mov_b32_e32 v4, v12
.LBB16_5:
	s_or_b64 exec, exec, s[0:1]
	v_add_u32_e32 v9, 64, v10
	v_cmp_gt_u32_e64 s[0:1], s33, v9
	s_and_saveexec_b64 s[2:3], s[0:1]
	s_cbranch_execz .LBB16_7
; %bb.6:
	global_load_ushort v11, v[5:6], off offset:128
	s_mov_b32 s6, 0x5040100
	s_waitcnt vmcnt(0)
	v_perm_b32 v3, v11, v3, s6
.LBB16_7:
	s_or_b64 exec, exec, s[2:3]
	v_add_u32_e32 v11, 0x80, v10
	v_cmp_gt_u32_e64 s[2:3], s33, v11
	s_and_saveexec_b64 s[6:7], s[2:3]
	s_cbranch_execz .LBB16_9
; %bb.8:
	global_load_ushort v12, v[5:6], off offset:256
	s_mov_b32 s8, 0xffff
	s_waitcnt vmcnt(0)
	v_bfi_b32 v4, s8, v12, v4
.LBB16_9:
	s_or_b64 exec, exec, s[6:7]
	v_add_u32_e32 v12, 0xc0, v10
	v_cmp_gt_u32_e64 s[6:7], s33, v12
	s_and_saveexec_b64 s[8:9], s[6:7]
	s_cbranch_execz .LBB16_11
; %bb.10:
	global_load_ushort v5, v[5:6], off offset:384
	s_mov_b32 s10, 0x5040100
	s_waitcnt vmcnt(0)
	v_perm_b32 v4, v5, v4, s10
.LBB16_11:
	s_or_b64 exec, exec, s[8:9]
	s_lshl_b64 s[8:9], s[28:29], 3
	s_add_u32 s8, s40, s8
	s_addc_u32 s9, s41, s9
	v_mov_b32_e32 v5, s9
	v_add_co_u32_e64 v6, s[8:9], s8, v14
	v_addc_co_u32_e64 v14, s[8:9], 0, v5, s[8:9]
	v_add_co_u32_e64 v5, s[8:9], v6, v13
	v_addc_co_u32_e64 v6, s[8:9], 0, v14, s[8:9]
                                        ; implicit-def: $vgpr21_vgpr22
	s_and_saveexec_b64 s[8:9], vcc
	s_cbranch_execnz .LBB16_54
; %bb.12:
	s_or_b64 exec, exec, s[8:9]
                                        ; implicit-def: $vgpr23_vgpr24
	s_and_saveexec_b64 s[8:9], s[0:1]
	s_cbranch_execnz .LBB16_55
.LBB16_13:
	s_or_b64 exec, exec, s[8:9]
                                        ; implicit-def: $vgpr25_vgpr26
	s_and_saveexec_b64 s[0:1], s[2:3]
	s_cbranch_execnz .LBB16_56
.LBB16_14:
	s_or_b64 exec, exec, s[0:1]
                                        ; implicit-def: $vgpr27_vgpr28
	s_and_saveexec_b64 s[0:1], s[6:7]
	s_cbranch_execz .LBB16_16
.LBB16_15:
	global_load_dwordx2 v[27:28], v[5:6], off offset:1536
.LBB16_16:
	s_or_b64 exec, exec, s[0:1]
	v_mov_b32_e32 v15, v10
.LBB16_17:
	s_load_dword s0, s[4:5], 0x3c
	s_load_dwordx2 s[36:37], s[4:5], 0x28
	v_cmp_lt_u32_e64 s[10:11], 31, v7
	v_mul_lo_u32 v5, v9, 6
	v_mul_lo_u32 v6, v11, 6
	s_waitcnt lgkmcnt(0)
	s_lshr_b32 s1, s0, 16
	s_and_b32 s0, s0, 0xffff
	v_mad_u32_u24 v1, v2, s1, v1
	v_mad_u64_u32 v[1:2], s[0:1], v1, s0, v[0:1]
	v_and_b32_e32 v2, 15, v7
	v_cmp_eq_u32_e64 s[0:1], 0, v2
	v_lshrrev_b32_e32 v1, 4, v1
	v_and_b32_e32 v30, 0xffffffc, v1
	v_and_b32_e32 v1, 16, v7
	v_cmp_eq_u32_e64 s[8:9], 0, v1
	v_or_b32_e32 v1, 63, v0
	v_cmp_lt_u32_e64 s[2:3], 1, v2
	v_cmp_lt_u32_e64 s[4:5], 3, v2
	;; [unrolled: 1-line block ×3, first 2 shown]
	v_cmp_eq_u32_e64 s[12:13], v0, v1
	v_subrev_co_u32_e64 v1, s[18:19], 1, v7
	v_and_b32_e32 v2, 64, v7
	v_cmp_lt_i32_e32 vcc, v1, v2
	v_and_b32_e32 v2, 3, v7
	v_cndmask_b32_e32 v1, v1, v7, vcc
	v_cmp_eq_u32_e64 s[22:23], 0, v2
	v_cmp_lt_u32_e64 s[24:25], 1, v2
	v_mul_lo_u32 v2, v15, 6
	v_mul_lo_u32 v7, v12, 6
	s_mov_b32 s26, 0
	v_lshlrev_b32_e32 v31, 2, v1
	v_lshrrev_b32_e32 v1, 4, v0
	s_mov_b32 s44, s26
	v_lshlrev_b32_e32 v29, 2, v8
	v_and_b32_e32 v32, 12, v1
	v_mul_i32_i24_e32 v1, -12, v0
	v_lshlrev_b32_e32 v34, 1, v15
	v_lshlrev_b32_e32 v35, 1, v9
	;; [unrolled: 1-line block ×4, first 2 shown]
	s_mov_b32 s27, s26
	s_mov_b32 s45, s26
	v_mov_b32_e32 v13, s26
	v_mov_b32_e32 v15, s44
	s_add_i32 s40, s37, s36
	v_cmp_gt_u32_e64 s[14:15], 4, v0
	v_cmp_lt_u32_e64 s[16:17], 63, v0
	v_cmp_eq_u32_e64 s[20:21], 0, v0
	v_add_u32_e32 v33, -4, v32
	v_mov_b32_e32 v14, s27
	v_mov_b32_e32 v16, s45
	;; [unrolled: 1-line block ×3, first 2 shown]
	v_add_u32_e32 v38, v29, v1
	s_mov_b32 s41, 0x5040100
	v_add_u32_e32 v39, v34, v2
	v_add_u32_e32 v40, v35, v5
	;; [unrolled: 1-line block ×4, first 2 shown]
	s_branch .LBB16_19
.LBB16_18:                              ;   in Loop: Header=BB16_19 Depth=1
	s_andn2_b64 vcc, exec, s[26:27]
	s_cbranch_vccz .LBB16_35
.LBB16_19:                              ; =>This Inner Loop Header: Depth=1
	v_mov_b32_e32 v20, v4
	s_min_u32 s26, s37, 8
	v_mov_b32_e32 v19, v3
	s_lshl_b32 s26, -1, s26
	s_not_b32 s44, s26
	v_lshrrev_b32_sdwa v1, s36, v19 dst_sel:DWORD dst_unused:UNUSED_PAD src0_sel:DWORD src1_sel:WORD_0
	v_and_b32_e32 v1, s44, v1
	v_and_b32_e32 v2, 1, v1
	v_add_co_u32_e32 v4, vcc, -1, v2
	v_addc_co_u32_e64 v18, s[26:27], 0, -1, vcc
	v_cmp_ne_u32_e32 vcc, 0, v2
	v_xor_b32_e32 v2, vcc_hi, v18
	v_lshlrev_b32_e32 v18, 30, v1
	v_xor_b32_e32 v4, vcc_lo, v4
	v_cmp_gt_i64_e32 vcc, 0, v[17:18]
	v_not_b32_e32 v18, v18
	s_waitcnt vmcnt(0)
	v_mov_b32_e32 v11, v21
	v_ashrrev_i32_e32 v18, 31, v18
	v_mov_b32_e32 v12, v22
	v_and_b32_e32 v4, exec_lo, v4
	v_xor_b32_e32 v21, vcc_hi, v18
	v_xor_b32_e32 v18, vcc_lo, v18
	v_and_b32_e32 v4, v4, v18
	v_lshlrev_b32_e32 v18, 29, v1
	v_cmp_gt_i64_e32 vcc, 0, v[17:18]
	v_not_b32_e32 v18, v18
	v_and_b32_e32 v2, exec_hi, v2
	v_ashrrev_i32_e32 v18, 31, v18
	v_and_b32_e32 v2, v2, v21
	v_xor_b32_e32 v21, vcc_hi, v18
	v_xor_b32_e32 v18, vcc_lo, v18
	v_and_b32_e32 v4, v4, v18
	v_lshlrev_b32_e32 v18, 28, v1
	v_cmp_gt_i64_e32 vcc, 0, v[17:18]
	v_not_b32_e32 v18, v18
	v_ashrrev_i32_e32 v18, 31, v18
	v_and_b32_e32 v2, v2, v21
	v_xor_b32_e32 v21, vcc_hi, v18
	v_xor_b32_e32 v18, vcc_lo, v18
	v_and_b32_e32 v4, v4, v18
	v_lshlrev_b32_e32 v18, 27, v1
	v_cmp_gt_i64_e32 vcc, 0, v[17:18]
	v_not_b32_e32 v18, v18
	;; [unrolled: 8-line block ×4, first 2 shown]
	v_ashrrev_i32_e32 v18, 31, v18
	v_and_b32_e32 v2, v2, v21
	v_xor_b32_e32 v21, vcc_hi, v18
	v_xor_b32_e32 v18, vcc_lo, v18
	v_and_b32_e32 v4, v4, v18
	v_lshlrev_b32_e32 v18, 24, v1
	v_lshlrev_b32_e32 v3, 4, v1
	v_cmp_gt_i64_e32 vcc, 0, v[17:18]
	v_not_b32_e32 v1, v18
	v_ashrrev_i32_e32 v1, 31, v1
	v_xor_b32_e32 v18, vcc_hi, v1
	v_xor_b32_e32 v1, vcc_lo, v1
	v_and_b32_e32 v2, v2, v21
	v_and_b32_e32 v1, v4, v1
	;; [unrolled: 1-line block ×3, first 2 shown]
	v_mbcnt_lo_u32_b32 v4, v1, 0
	v_mbcnt_hi_u32_b32 v21, v2, v4
	v_cmp_ne_u64_e32 vcc, 0, v[1:2]
	v_mov_b32_e32 v9, v23
	v_mov_b32_e32 v7, v25
	;; [unrolled: 1-line block ×3, first 2 shown]
	v_cmp_eq_u32_e64 s[26:27], 0, v21
	v_mov_b32_e32 v10, v24
	v_mov_b32_e32 v8, v26
	;; [unrolled: 1-line block ×3, first 2 shown]
	s_and_b64 s[46:47], vcc, s[26:27]
	v_add_u32_e32 v22, v30, v3
	ds_write2_b64 v29, v[13:14], v[15:16] offset0:2 offset1:3
	s_waitcnt lgkmcnt(0)
	s_barrier
	; wave barrier
	s_and_saveexec_b64 s[26:27], s[46:47]
; %bb.20:                               ;   in Loop: Header=BB16_19 Depth=1
	v_bcnt_u32_b32 v1, v1, 0
	v_bcnt_u32_b32 v1, v2, v1
	ds_write_b32 v22, v1 offset:16
; %bb.21:                               ;   in Loop: Header=BB16_19 Depth=1
	s_or_b64 exec, exec, s[26:27]
	v_lshrrev_b32_e32 v43, 16, v19
	v_lshrrev_b32_e32 v1, s36, v43
	v_and_b32_e32 v1, s44, v1
	v_lshlrev_b32_e32 v2, 4, v1
	v_add_u32_e32 v24, v30, v2
	v_and_b32_e32 v2, 1, v1
	v_add_co_u32_e32 v3, vcc, -1, v2
	v_addc_co_u32_e64 v4, s[26:27], 0, -1, vcc
	v_cmp_ne_u32_e32 vcc, 0, v2
	v_lshlrev_b32_e32 v18, 30, v1
	v_xor_b32_e32 v2, vcc_hi, v4
	v_xor_b32_e32 v3, vcc_lo, v3
	v_cmp_gt_i64_e32 vcc, 0, v[17:18]
	v_not_b32_e32 v4, v18
	v_ashrrev_i32_e32 v4, 31, v4
	v_and_b32_e32 v2, exec_hi, v2
	v_xor_b32_e32 v18, vcc_hi, v4
	v_and_b32_e32 v3, exec_lo, v3
	v_xor_b32_e32 v4, vcc_lo, v4
	v_and_b32_e32 v2, v2, v18
	v_lshlrev_b32_e32 v18, 29, v1
	v_and_b32_e32 v3, v3, v4
	v_cmp_gt_i64_e32 vcc, 0, v[17:18]
	v_not_b32_e32 v4, v18
	v_ashrrev_i32_e32 v4, 31, v4
	v_xor_b32_e32 v18, vcc_hi, v4
	v_xor_b32_e32 v4, vcc_lo, v4
	v_and_b32_e32 v2, v2, v18
	v_lshlrev_b32_e32 v18, 28, v1
	v_and_b32_e32 v3, v3, v4
	v_cmp_gt_i64_e32 vcc, 0, v[17:18]
	v_not_b32_e32 v4, v18
	v_ashrrev_i32_e32 v4, 31, v4
	v_xor_b32_e32 v18, vcc_hi, v4
	;; [unrolled: 8-line block ×5, first 2 shown]
	v_and_b32_e32 v2, v2, v18
	v_lshlrev_b32_e32 v18, 24, v1
	v_xor_b32_e32 v4, vcc_lo, v4
	v_cmp_gt_i64_e32 vcc, 0, v[17:18]
	v_not_b32_e32 v1, v18
	v_ashrrev_i32_e32 v1, 31, v1
	v_and_b32_e32 v3, v3, v4
	v_xor_b32_e32 v4, vcc_hi, v1
	v_xor_b32_e32 v1, vcc_lo, v1
	; wave barrier
	ds_read_b32 v23, v24 offset:16
	v_and_b32_e32 v1, v3, v1
	v_and_b32_e32 v2, v2, v4
	v_mbcnt_lo_u32_b32 v3, v1, 0
	v_mbcnt_hi_u32_b32 v25, v2, v3
	v_cmp_ne_u64_e32 vcc, 0, v[1:2]
	v_cmp_eq_u32_e64 s[26:27], 0, v25
	s_and_b64 s[46:47], vcc, s[26:27]
	; wave barrier
	s_and_saveexec_b64 s[26:27], s[46:47]
	s_cbranch_execz .LBB16_23
; %bb.22:                               ;   in Loop: Header=BB16_19 Depth=1
	v_bcnt_u32_b32 v1, v1, 0
	v_bcnt_u32_b32 v1, v2, v1
	s_waitcnt lgkmcnt(0)
	v_add_u32_e32 v1, v23, v1
	ds_write_b32 v24, v1 offset:16
.LBB16_23:                              ;   in Loop: Header=BB16_19 Depth=1
	s_or_b64 exec, exec, s[26:27]
	v_lshrrev_b32_sdwa v1, s36, v20 dst_sel:DWORD dst_unused:UNUSED_PAD src0_sel:DWORD src1_sel:WORD_0
	v_and_b32_e32 v1, s44, v1
	v_lshlrev_b32_e32 v2, 4, v1
	v_add_u32_e32 v27, v30, v2
	v_and_b32_e32 v2, 1, v1
	v_add_co_u32_e32 v3, vcc, -1, v2
	v_addc_co_u32_e64 v4, s[26:27], 0, -1, vcc
	v_cmp_ne_u32_e32 vcc, 0, v2
	v_lshlrev_b32_e32 v18, 30, v1
	v_xor_b32_e32 v2, vcc_hi, v4
	v_xor_b32_e32 v3, vcc_lo, v3
	v_cmp_gt_i64_e32 vcc, 0, v[17:18]
	v_not_b32_e32 v4, v18
	v_ashrrev_i32_e32 v4, 31, v4
	v_and_b32_e32 v2, exec_hi, v2
	v_xor_b32_e32 v18, vcc_hi, v4
	v_and_b32_e32 v3, exec_lo, v3
	v_xor_b32_e32 v4, vcc_lo, v4
	v_and_b32_e32 v2, v2, v18
	v_lshlrev_b32_e32 v18, 29, v1
	v_and_b32_e32 v3, v3, v4
	v_cmp_gt_i64_e32 vcc, 0, v[17:18]
	v_not_b32_e32 v4, v18
	v_ashrrev_i32_e32 v4, 31, v4
	v_xor_b32_e32 v18, vcc_hi, v4
	v_xor_b32_e32 v4, vcc_lo, v4
	v_and_b32_e32 v2, v2, v18
	v_lshlrev_b32_e32 v18, 28, v1
	v_and_b32_e32 v3, v3, v4
	v_cmp_gt_i64_e32 vcc, 0, v[17:18]
	v_not_b32_e32 v4, v18
	v_ashrrev_i32_e32 v4, 31, v4
	v_xor_b32_e32 v18, vcc_hi, v4
	;; [unrolled: 8-line block ×5, first 2 shown]
	v_and_b32_e32 v2, v2, v18
	v_lshlrev_b32_e32 v18, 24, v1
	v_xor_b32_e32 v4, vcc_lo, v4
	v_cmp_gt_i64_e32 vcc, 0, v[17:18]
	v_not_b32_e32 v1, v18
	v_ashrrev_i32_e32 v1, 31, v1
	v_and_b32_e32 v3, v3, v4
	v_xor_b32_e32 v4, vcc_hi, v1
	v_xor_b32_e32 v1, vcc_lo, v1
	; wave barrier
	ds_read_b32 v26, v27 offset:16
	v_and_b32_e32 v1, v3, v1
	v_and_b32_e32 v2, v2, v4
	v_mbcnt_lo_u32_b32 v3, v1, 0
	v_mbcnt_hi_u32_b32 v28, v2, v3
	v_cmp_ne_u64_e32 vcc, 0, v[1:2]
	v_cmp_eq_u32_e64 s[26:27], 0, v28
	s_and_b64 s[46:47], vcc, s[26:27]
	; wave barrier
	s_and_saveexec_b64 s[26:27], s[46:47]
	s_cbranch_execz .LBB16_25
; %bb.24:                               ;   in Loop: Header=BB16_19 Depth=1
	v_bcnt_u32_b32 v1, v1, 0
	v_bcnt_u32_b32 v1, v2, v1
	s_waitcnt lgkmcnt(0)
	v_add_u32_e32 v1, v26, v1
	ds_write_b32 v27, v1 offset:16
.LBB16_25:                              ;   in Loop: Header=BB16_19 Depth=1
	s_or_b64 exec, exec, s[26:27]
	v_lshrrev_b32_e32 v44, 16, v20
	v_lshrrev_b32_e32 v1, s36, v44
	v_and_b32_e32 v1, s44, v1
	v_lshlrev_b32_e32 v2, 4, v1
	v_add_u32_e32 v46, v30, v2
	v_and_b32_e32 v2, 1, v1
	v_add_co_u32_e32 v3, vcc, -1, v2
	v_addc_co_u32_e64 v4, s[26:27], 0, -1, vcc
	v_cmp_ne_u32_e32 vcc, 0, v2
	v_lshlrev_b32_e32 v18, 30, v1
	v_xor_b32_e32 v2, vcc_hi, v4
	v_xor_b32_e32 v3, vcc_lo, v3
	v_cmp_gt_i64_e32 vcc, 0, v[17:18]
	v_not_b32_e32 v4, v18
	v_ashrrev_i32_e32 v4, 31, v4
	v_and_b32_e32 v2, exec_hi, v2
	v_xor_b32_e32 v18, vcc_hi, v4
	v_and_b32_e32 v3, exec_lo, v3
	v_xor_b32_e32 v4, vcc_lo, v4
	v_and_b32_e32 v2, v2, v18
	v_lshlrev_b32_e32 v18, 29, v1
	v_and_b32_e32 v3, v3, v4
	v_cmp_gt_i64_e32 vcc, 0, v[17:18]
	v_not_b32_e32 v4, v18
	v_ashrrev_i32_e32 v4, 31, v4
	v_xor_b32_e32 v18, vcc_hi, v4
	v_xor_b32_e32 v4, vcc_lo, v4
	v_and_b32_e32 v2, v2, v18
	v_lshlrev_b32_e32 v18, 28, v1
	v_and_b32_e32 v3, v3, v4
	v_cmp_gt_i64_e32 vcc, 0, v[17:18]
	v_not_b32_e32 v4, v18
	v_ashrrev_i32_e32 v4, 31, v4
	v_xor_b32_e32 v18, vcc_hi, v4
	;; [unrolled: 8-line block ×5, first 2 shown]
	v_and_b32_e32 v2, v2, v18
	v_lshlrev_b32_e32 v18, 24, v1
	v_xor_b32_e32 v4, vcc_lo, v4
	v_cmp_gt_i64_e32 vcc, 0, v[17:18]
	v_not_b32_e32 v1, v18
	v_ashrrev_i32_e32 v1, 31, v1
	v_and_b32_e32 v3, v3, v4
	v_xor_b32_e32 v4, vcc_hi, v1
	v_xor_b32_e32 v1, vcc_lo, v1
	; wave barrier
	ds_read_b32 v45, v46 offset:16
	v_and_b32_e32 v1, v3, v1
	v_and_b32_e32 v2, v2, v4
	v_mbcnt_lo_u32_b32 v3, v1, 0
	v_mbcnt_hi_u32_b32 v18, v2, v3
	v_cmp_ne_u64_e32 vcc, 0, v[1:2]
	v_cmp_eq_u32_e64 s[26:27], 0, v18
	s_and_b64 s[44:45], vcc, s[26:27]
	; wave barrier
	s_and_saveexec_b64 s[26:27], s[44:45]
	s_cbranch_execz .LBB16_27
; %bb.26:                               ;   in Loop: Header=BB16_19 Depth=1
	v_bcnt_u32_b32 v1, v1, 0
	v_bcnt_u32_b32 v1, v2, v1
	s_waitcnt lgkmcnt(0)
	v_add_u32_e32 v1, v45, v1
	ds_write_b32 v46, v1 offset:16
.LBB16_27:                              ;   in Loop: Header=BB16_19 Depth=1
	s_or_b64 exec, exec, s[26:27]
	; wave barrier
	s_waitcnt lgkmcnt(0)
	s_barrier
	ds_read2_b64 v[1:4], v29 offset0:2 offset1:3
	s_waitcnt lgkmcnt(0)
	v_add_u32_e32 v47, v2, v1
	v_add3_u32 v4, v47, v3, v4
	s_nop 1
	v_mov_b32_dpp v47, v4 row_shr:1 row_mask:0xf bank_mask:0xf
	v_cndmask_b32_e64 v47, v47, 0, s[0:1]
	v_add_u32_e32 v4, v47, v4
	s_nop 1
	v_mov_b32_dpp v47, v4 row_shr:2 row_mask:0xf bank_mask:0xf
	v_cndmask_b32_e64 v47, 0, v47, s[2:3]
	v_add_u32_e32 v4, v4, v47
	;; [unrolled: 4-line block ×4, first 2 shown]
	s_nop 1
	v_mov_b32_dpp v47, v4 row_bcast:15 row_mask:0xf bank_mask:0xf
	v_cndmask_b32_e64 v47, v47, 0, s[8:9]
	v_add_u32_e32 v4, v4, v47
	s_nop 1
	v_mov_b32_dpp v47, v4 row_bcast:31 row_mask:0xf bank_mask:0xf
	v_cndmask_b32_e64 v47, 0, v47, s[10:11]
	v_add_u32_e32 v4, v4, v47
	s_and_saveexec_b64 s[26:27], s[12:13]
; %bb.28:                               ;   in Loop: Header=BB16_19 Depth=1
	ds_write_b32 v32, v4
; %bb.29:                               ;   in Loop: Header=BB16_19 Depth=1
	s_or_b64 exec, exec, s[26:27]
	s_waitcnt lgkmcnt(0)
	s_barrier
	s_and_saveexec_b64 s[26:27], s[14:15]
	s_cbranch_execz .LBB16_31
; %bb.30:                               ;   in Loop: Header=BB16_19 Depth=1
	ds_read_b32 v47, v38
	s_waitcnt lgkmcnt(0)
	s_nop 0
	v_mov_b32_dpp v48, v47 row_shr:1 row_mask:0xf bank_mask:0xf
	v_cndmask_b32_e64 v48, v48, 0, s[22:23]
	v_add_u32_e32 v47, v48, v47
	s_nop 1
	v_mov_b32_dpp v48, v47 row_shr:2 row_mask:0xf bank_mask:0xf
	v_cndmask_b32_e64 v48, 0, v48, s[24:25]
	v_add_u32_e32 v47, v47, v48
	ds_write_b32 v38, v47
.LBB16_31:                              ;   in Loop: Header=BB16_19 Depth=1
	s_or_b64 exec, exec, s[26:27]
	v_mov_b32_e32 v47, 0
	s_waitcnt lgkmcnt(0)
	s_barrier
	s_and_saveexec_b64 s[26:27], s[16:17]
; %bb.32:                               ;   in Loop: Header=BB16_19 Depth=1
	ds_read_b32 v47, v33
; %bb.33:                               ;   in Loop: Header=BB16_19 Depth=1
	s_or_b64 exec, exec, s[26:27]
	s_waitcnt lgkmcnt(0)
	v_add_u32_e32 v4, v47, v4
	ds_bpermute_b32 v4, v31, v4
	s_add_i32 s36, s36, 8
	s_cmp_ge_u32 s36, s40
	s_mov_b64 s[26:27], -1
	s_waitcnt lgkmcnt(0)
	v_cndmask_b32_e64 v4, v4, v47, s[18:19]
	v_cndmask_b32_e64 v47, v4, 0, s[20:21]
	v_add_u32_e32 v48, v47, v1
	v_add_u32_e32 v1, v48, v2
	v_add_u32_e32 v2, v1, v3
	ds_write2_b64 v29, v[47:48], v[1:2] offset0:2 offset1:3
	s_waitcnt lgkmcnt(0)
	s_barrier
	ds_read_b32 v1, v22 offset:16
	ds_read_b32 v2, v24 offset:16
	;; [unrolled: 1-line block ×4, first 2 shown]
	s_waitcnt lgkmcnt(0)
	v_add_u32_e32 v1, v1, v21
	v_mul_lo_u32 v49, v1, 6
	v_add3_u32 v47, v25, v23, v2
	v_add3_u32 v46, v28, v26, v3
	;; [unrolled: 1-line block ×3, first 2 shown]
	v_lshlrev_b32_e32 v48, 1, v1
	v_lshlrev_b32_e32 v2, 1, v47
	;; [unrolled: 1-line block ×4, first 2 shown]
                                        ; implicit-def: $vgpr3_vgpr4
                                        ; implicit-def: $vgpr21_vgpr22
                                        ; implicit-def: $vgpr23_vgpr24
                                        ; implicit-def: $vgpr25_vgpr26
                                        ; implicit-def: $vgpr27_vgpr28
	s_cbranch_scc1 .LBB16_18
; %bb.34:                               ;   in Loop: Header=BB16_19 Depth=1
	s_barrier
	ds_write_b16 v48, v19
	ds_write_b16 v2, v43
	;; [unrolled: 1-line block ×4, first 2 shown]
	s_waitcnt lgkmcnt(0)
	s_barrier
	ds_read_u16 v3, v34
	ds_read_u16 v4, v36
	;; [unrolled: 1-line block ×4, first 2 shown]
	v_add_u32_e32 v25, v48, v49
	s_waitcnt lgkmcnt(0)
	s_barrier
	v_perm_b32 v4, v21, v4, s41
	v_perm_b32 v3, v22, v3, s41
	v_mad_u64_u32 v[21:22], s[26:27], v47, 6, v[2:3]
	v_mad_u64_u32 v[22:23], s[26:27], v46, 6, v[18:19]
	;; [unrolled: 1-line block ×3, first 2 shown]
	ds_write_b64 v25, v[11:12]
	ds_write_b64 v21, v[9:10]
	;; [unrolled: 1-line block ×4, first 2 shown]
	s_waitcnt lgkmcnt(0)
	s_barrier
	ds_read_b64 v[21:22], v39
	ds_read_b64 v[23:24], v40
	;; [unrolled: 1-line block ×4, first 2 shown]
	s_add_i32 s37, s37, -8
	s_mov_b64 s[26:27], 0
	s_waitcnt lgkmcnt(0)
	s_barrier
	s_branch .LBB16_18
.LBB16_35:
	s_barrier
	ds_write_b16 v48, v19
	ds_write_b16 v2, v43
	ds_write_b16 v18, v20
	ds_write_b16 v1, v44
	v_mad_u64_u32 v[2:3], s[0:1], v47, 6, v[2:3]
	v_lshlrev_b32_e32 v19, 1, v0
	s_waitcnt lgkmcnt(0)
	s_barrier
	ds_read_u16 v16, v19
	ds_read_u16 v15, v19 offset:512
	ds_read_u16 v14, v19 offset:1024
	;; [unrolled: 1-line block ×3, first 2 shown]
	v_mad_u64_u32 v[3:4], s[0:1], v46, 6, v[18:19]
	v_add_u32_e32 v20, v48, v49
	v_mad_u64_u32 v[17:18], s[0:1], v45, 6, v[1:2]
	v_mad_u32_u24 v1, v0, 6, v19
	s_waitcnt lgkmcnt(0)
	s_barrier
	ds_write_b64 v20, v[11:12]
	ds_write_b64 v2, v[9:10]
	ds_write_b64 v3, v[7:8]
	ds_write_b64 v17, v[5:6]
	s_waitcnt lgkmcnt(0)
	s_barrier
	ds_read2st64_b64 v[5:8], v1 offset1:4
	ds_read2st64_b64 v[1:4], v1 offset0:8 offset1:12
	s_add_u32 s0, s38, s34
	s_addc_u32 s1, s39, s35
	v_mov_b32_e32 v10, s1
	v_add_co_u32_e32 v9, vcc, s0, v19
	v_addc_co_u32_e32 v10, vcc, 0, v10, vcc
	s_andn2_b64 vcc, exec, s[30:31]
	v_lshlrev_b32_e32 v11, 3, v0
	s_cbranch_vccnz .LBB16_37
; %bb.36:
	s_lshl_b64 s[0:1], s[28:29], 3
	s_add_u32 s0, s42, s0
	s_addc_u32 s1, s43, s1
	v_mov_b32_e32 v12, s1
	v_add_co_u32_e32 v17, vcc, s0, v11
	v_addc_co_u32_e32 v12, vcc, 0, v12, vcc
	v_add_co_u32_e32 v17, vcc, 0x1000, v17
	global_store_short v[9:10], v16, off
	global_store_short v[9:10], v15, off offset:512
	global_store_short v[9:10], v14, off offset:1024
	;; [unrolled: 1-line block ×3, first 2 shown]
	s_waitcnt lgkmcnt(1)
	global_store_dwordx2 v11, v[5:6], s[0:1]
	global_store_dwordx2 v11, v[7:8], s[0:1] offset:2048
	v_addc_co_u32_e32 v18, vcc, 0, v12, vcc
	s_mov_b64 s[6:7], -1
	s_waitcnt lgkmcnt(0)
	global_store_dwordx2 v[17:18], v[1:2], off
	s_cbranch_execz .LBB16_38
	s_branch .LBB16_51
.LBB16_37:
	s_mov_b64 s[6:7], 0
.LBB16_38:
	v_cmp_gt_u32_e32 vcc, s33, v0
	s_and_saveexec_b64 s[0:1], vcc
	s_cbranch_execz .LBB16_40
; %bb.39:
	global_store_short v[9:10], v16, off
.LBB16_40:
	s_or_b64 exec, exec, s[0:1]
	v_or_b32_e32 v12, 0x100, v0
	v_cmp_gt_u32_e64 s[0:1], s33, v12
	s_and_saveexec_b64 s[2:3], s[0:1]
	s_cbranch_execz .LBB16_42
; %bb.41:
	global_store_short v[9:10], v15, off offset:512
.LBB16_42:
	s_or_b64 exec, exec, s[2:3]
	v_or_b32_e32 v12, 0x200, v0
	v_cmp_gt_u32_e64 s[2:3], s33, v12
	s_and_saveexec_b64 s[4:5], s[2:3]
	s_cbranch_execz .LBB16_44
; %bb.43:
	global_store_short v[9:10], v14, off offset:1024
.LBB16_44:
	;; [unrolled: 8-line block ×3, first 2 shown]
	s_or_b64 exec, exec, s[4:5]
	s_lshl_b64 s[4:5], s[28:29], 3
	s_add_u32 s4, s42, s4
	s_addc_u32 s5, s43, s5
	v_mov_b32_e32 v0, s5
	v_add_co_u32_e64 v9, s[4:5], s4, v11
	v_addc_co_u32_e64 v10, s[4:5], 0, v0, s[4:5]
	s_and_saveexec_b64 s[4:5], vcc
	s_cbranch_execnz .LBB16_57
; %bb.47:
	s_or_b64 exec, exec, s[4:5]
	s_and_saveexec_b64 s[4:5], s[0:1]
	s_cbranch_execnz .LBB16_58
.LBB16_48:
	s_or_b64 exec, exec, s[4:5]
	s_and_saveexec_b64 s[0:1], s[2:3]
	s_cbranch_execz .LBB16_50
.LBB16_49:
	s_waitcnt lgkmcnt(1)
	v_add_co_u32_e32 v5, vcc, 0x1000, v9
	v_addc_co_u32_e32 v6, vcc, 0, v10, vcc
	s_waitcnt lgkmcnt(0)
	global_store_dwordx2 v[5:6], v[1:2], off
.LBB16_50:
	s_or_b64 exec, exec, s[0:1]
.LBB16_51:
	s_and_saveexec_b64 s[0:1], s[6:7]
	s_cbranch_execnz .LBB16_53
; %bb.52:
	s_endpgm
.LBB16_53:
	s_lshl_b64 s[0:1], s[28:29], 3
	s_add_u32 s0, s42, s0
	s_addc_u32 s1, s43, s1
	v_mov_b32_e32 v0, s1
	s_waitcnt lgkmcnt(0)
	v_add_co_u32_e32 v1, vcc, s0, v11
	v_addc_co_u32_e32 v2, vcc, 0, v0, vcc
	v_add_co_u32_e32 v0, vcc, 0x1000, v1
	v_addc_co_u32_e32 v1, vcc, 0, v2, vcc
	global_store_dwordx2 v[0:1], v[3:4], off offset:2048
	s_endpgm
.LBB16_54:
	global_load_dwordx2 v[21:22], v[5:6], off
	s_or_b64 exec, exec, s[8:9]
                                        ; implicit-def: $vgpr23_vgpr24
	s_and_saveexec_b64 s[8:9], s[0:1]
	s_cbranch_execz .LBB16_13
.LBB16_55:
	global_load_dwordx2 v[23:24], v[5:6], off offset:512
	s_or_b64 exec, exec, s[8:9]
                                        ; implicit-def: $vgpr25_vgpr26
	s_and_saveexec_b64 s[0:1], s[2:3]
	s_cbranch_execz .LBB16_14
.LBB16_56:
	global_load_dwordx2 v[25:26], v[5:6], off offset:1024
	s_or_b64 exec, exec, s[0:1]
                                        ; implicit-def: $vgpr27_vgpr28
	s_and_saveexec_b64 s[0:1], s[6:7]
	s_cbranch_execnz .LBB16_15
	s_branch .LBB16_16
.LBB16_57:
	s_waitcnt lgkmcnt(1)
	global_store_dwordx2 v[9:10], v[5:6], off
	s_or_b64 exec, exec, s[4:5]
	s_and_saveexec_b64 s[4:5], s[0:1]
	s_cbranch_execz .LBB16_48
.LBB16_58:
	s_waitcnt lgkmcnt(1)
	global_store_dwordx2 v[9:10], v[7:8], off offset:2048
	s_or_b64 exec, exec, s[4:5]
	s_and_saveexec_b64 s[0:1], s[2:3]
	s_cbranch_execnz .LBB16_49
	s_branch .LBB16_50
	.section	.rodata,"a",@progbits
	.p2align	6, 0x0
	.amdhsa_kernel _ZN7rocprim17ROCPRIM_304000_NS6detail28radix_sort_block_sort_kernelINS1_36wrapped_radix_sort_block_sort_configINS0_13kernel_configILj256ELj4ELj4294967295EEEtN2at4cuda3cub6detail10OpaqueTypeILi8EEEEELb0EPKtPtPKSB_PSB_NS0_19identity_decomposerEEEvT1_T2_T3_T4_jT5_jj
		.amdhsa_group_segment_fixed_size 8192
		.amdhsa_private_segment_fixed_size 0
		.amdhsa_kernarg_size 304
		.amdhsa_user_sgpr_count 6
		.amdhsa_user_sgpr_private_segment_buffer 1
		.amdhsa_user_sgpr_dispatch_ptr 0
		.amdhsa_user_sgpr_queue_ptr 0
		.amdhsa_user_sgpr_kernarg_segment_ptr 1
		.amdhsa_user_sgpr_dispatch_id 0
		.amdhsa_user_sgpr_flat_scratch_init 0
		.amdhsa_user_sgpr_private_segment_size 0
		.amdhsa_uses_dynamic_stack 0
		.amdhsa_system_sgpr_private_segment_wavefront_offset 0
		.amdhsa_system_sgpr_workgroup_id_x 1
		.amdhsa_system_sgpr_workgroup_id_y 0
		.amdhsa_system_sgpr_workgroup_id_z 0
		.amdhsa_system_sgpr_workgroup_info 0
		.amdhsa_system_vgpr_workitem_id 2
		.amdhsa_next_free_vgpr 50
		.amdhsa_next_free_sgpr 61
		.amdhsa_reserve_vcc 1
		.amdhsa_reserve_flat_scratch 0
		.amdhsa_float_round_mode_32 0
		.amdhsa_float_round_mode_16_64 0
		.amdhsa_float_denorm_mode_32 3
		.amdhsa_float_denorm_mode_16_64 3
		.amdhsa_dx10_clamp 1
		.amdhsa_ieee_mode 1
		.amdhsa_fp16_overflow 0
		.amdhsa_exception_fp_ieee_invalid_op 0
		.amdhsa_exception_fp_denorm_src 0
		.amdhsa_exception_fp_ieee_div_zero 0
		.amdhsa_exception_fp_ieee_overflow 0
		.amdhsa_exception_fp_ieee_underflow 0
		.amdhsa_exception_fp_ieee_inexact 0
		.amdhsa_exception_int_div_zero 0
	.end_amdhsa_kernel
	.section	.text._ZN7rocprim17ROCPRIM_304000_NS6detail28radix_sort_block_sort_kernelINS1_36wrapped_radix_sort_block_sort_configINS0_13kernel_configILj256ELj4ELj4294967295EEEtN2at4cuda3cub6detail10OpaqueTypeILi8EEEEELb0EPKtPtPKSB_PSB_NS0_19identity_decomposerEEEvT1_T2_T3_T4_jT5_jj,"axG",@progbits,_ZN7rocprim17ROCPRIM_304000_NS6detail28radix_sort_block_sort_kernelINS1_36wrapped_radix_sort_block_sort_configINS0_13kernel_configILj256ELj4ELj4294967295EEEtN2at4cuda3cub6detail10OpaqueTypeILi8EEEEELb0EPKtPtPKSB_PSB_NS0_19identity_decomposerEEEvT1_T2_T3_T4_jT5_jj,comdat
.Lfunc_end16:
	.size	_ZN7rocprim17ROCPRIM_304000_NS6detail28radix_sort_block_sort_kernelINS1_36wrapped_radix_sort_block_sort_configINS0_13kernel_configILj256ELj4ELj4294967295EEEtN2at4cuda3cub6detail10OpaqueTypeILi8EEEEELb0EPKtPtPKSB_PSB_NS0_19identity_decomposerEEEvT1_T2_T3_T4_jT5_jj, .Lfunc_end16-_ZN7rocprim17ROCPRIM_304000_NS6detail28radix_sort_block_sort_kernelINS1_36wrapped_radix_sort_block_sort_configINS0_13kernel_configILj256ELj4ELj4294967295EEEtN2at4cuda3cub6detail10OpaqueTypeILi8EEEEELb0EPKtPtPKSB_PSB_NS0_19identity_decomposerEEEvT1_T2_T3_T4_jT5_jj
                                        ; -- End function
	.set _ZN7rocprim17ROCPRIM_304000_NS6detail28radix_sort_block_sort_kernelINS1_36wrapped_radix_sort_block_sort_configINS0_13kernel_configILj256ELj4ELj4294967295EEEtN2at4cuda3cub6detail10OpaqueTypeILi8EEEEELb0EPKtPtPKSB_PSB_NS0_19identity_decomposerEEEvT1_T2_T3_T4_jT5_jj.num_vgpr, 50
	.set _ZN7rocprim17ROCPRIM_304000_NS6detail28radix_sort_block_sort_kernelINS1_36wrapped_radix_sort_block_sort_configINS0_13kernel_configILj256ELj4ELj4294967295EEEtN2at4cuda3cub6detail10OpaqueTypeILi8EEEEELb0EPKtPtPKSB_PSB_NS0_19identity_decomposerEEEvT1_T2_T3_T4_jT5_jj.num_agpr, 0
	.set _ZN7rocprim17ROCPRIM_304000_NS6detail28radix_sort_block_sort_kernelINS1_36wrapped_radix_sort_block_sort_configINS0_13kernel_configILj256ELj4ELj4294967295EEEtN2at4cuda3cub6detail10OpaqueTypeILi8EEEEELb0EPKtPtPKSB_PSB_NS0_19identity_decomposerEEEvT1_T2_T3_T4_jT5_jj.numbered_sgpr, 48
	.set _ZN7rocprim17ROCPRIM_304000_NS6detail28radix_sort_block_sort_kernelINS1_36wrapped_radix_sort_block_sort_configINS0_13kernel_configILj256ELj4ELj4294967295EEEtN2at4cuda3cub6detail10OpaqueTypeILi8EEEEELb0EPKtPtPKSB_PSB_NS0_19identity_decomposerEEEvT1_T2_T3_T4_jT5_jj.num_named_barrier, 0
	.set _ZN7rocprim17ROCPRIM_304000_NS6detail28radix_sort_block_sort_kernelINS1_36wrapped_radix_sort_block_sort_configINS0_13kernel_configILj256ELj4ELj4294967295EEEtN2at4cuda3cub6detail10OpaqueTypeILi8EEEEELb0EPKtPtPKSB_PSB_NS0_19identity_decomposerEEEvT1_T2_T3_T4_jT5_jj.private_seg_size, 0
	.set _ZN7rocprim17ROCPRIM_304000_NS6detail28radix_sort_block_sort_kernelINS1_36wrapped_radix_sort_block_sort_configINS0_13kernel_configILj256ELj4ELj4294967295EEEtN2at4cuda3cub6detail10OpaqueTypeILi8EEEEELb0EPKtPtPKSB_PSB_NS0_19identity_decomposerEEEvT1_T2_T3_T4_jT5_jj.uses_vcc, 1
	.set _ZN7rocprim17ROCPRIM_304000_NS6detail28radix_sort_block_sort_kernelINS1_36wrapped_radix_sort_block_sort_configINS0_13kernel_configILj256ELj4ELj4294967295EEEtN2at4cuda3cub6detail10OpaqueTypeILi8EEEEELb0EPKtPtPKSB_PSB_NS0_19identity_decomposerEEEvT1_T2_T3_T4_jT5_jj.uses_flat_scratch, 0
	.set _ZN7rocprim17ROCPRIM_304000_NS6detail28radix_sort_block_sort_kernelINS1_36wrapped_radix_sort_block_sort_configINS0_13kernel_configILj256ELj4ELj4294967295EEEtN2at4cuda3cub6detail10OpaqueTypeILi8EEEEELb0EPKtPtPKSB_PSB_NS0_19identity_decomposerEEEvT1_T2_T3_T4_jT5_jj.has_dyn_sized_stack, 0
	.set _ZN7rocprim17ROCPRIM_304000_NS6detail28radix_sort_block_sort_kernelINS1_36wrapped_radix_sort_block_sort_configINS0_13kernel_configILj256ELj4ELj4294967295EEEtN2at4cuda3cub6detail10OpaqueTypeILi8EEEEELb0EPKtPtPKSB_PSB_NS0_19identity_decomposerEEEvT1_T2_T3_T4_jT5_jj.has_recursion, 0
	.set _ZN7rocprim17ROCPRIM_304000_NS6detail28radix_sort_block_sort_kernelINS1_36wrapped_radix_sort_block_sort_configINS0_13kernel_configILj256ELj4ELj4294967295EEEtN2at4cuda3cub6detail10OpaqueTypeILi8EEEEELb0EPKtPtPKSB_PSB_NS0_19identity_decomposerEEEvT1_T2_T3_T4_jT5_jj.has_indirect_call, 0
	.section	.AMDGPU.csdata,"",@progbits
; Kernel info:
; codeLenInByte = 3916
; TotalNumSgprs: 52
; NumVgprs: 50
; ScratchSize: 0
; MemoryBound: 0
; FloatMode: 240
; IeeeMode: 1
; LDSByteSize: 8192 bytes/workgroup (compile time only)
; SGPRBlocks: 8
; VGPRBlocks: 12
; NumSGPRsForWavesPerEU: 65
; NumVGPRsForWavesPerEU: 50
; Occupancy: 4
; WaveLimiterHint : 1
; COMPUTE_PGM_RSRC2:SCRATCH_EN: 0
; COMPUTE_PGM_RSRC2:USER_SGPR: 6
; COMPUTE_PGM_RSRC2:TRAP_HANDLER: 0
; COMPUTE_PGM_RSRC2:TGID_X_EN: 1
; COMPUTE_PGM_RSRC2:TGID_Y_EN: 0
; COMPUTE_PGM_RSRC2:TGID_Z_EN: 0
; COMPUTE_PGM_RSRC2:TIDIG_COMP_CNT: 2
	.section	.text._ZN7rocprim17ROCPRIM_304000_NS6detail45device_block_merge_mergepath_partition_kernelINS1_37wrapped_merge_sort_block_merge_configINS0_14default_configEtN2at4cuda3cub6detail10OpaqueTypeILi8EEEEEPtjNS1_19radix_merge_compareILb0ELb0EtNS0_19identity_decomposerEEEEEvT0_T1_jPSH_T2_SH_,"axG",@progbits,_ZN7rocprim17ROCPRIM_304000_NS6detail45device_block_merge_mergepath_partition_kernelINS1_37wrapped_merge_sort_block_merge_configINS0_14default_configEtN2at4cuda3cub6detail10OpaqueTypeILi8EEEEEPtjNS1_19radix_merge_compareILb0ELb0EtNS0_19identity_decomposerEEEEEvT0_T1_jPSH_T2_SH_,comdat
	.protected	_ZN7rocprim17ROCPRIM_304000_NS6detail45device_block_merge_mergepath_partition_kernelINS1_37wrapped_merge_sort_block_merge_configINS0_14default_configEtN2at4cuda3cub6detail10OpaqueTypeILi8EEEEEPtjNS1_19radix_merge_compareILb0ELb0EtNS0_19identity_decomposerEEEEEvT0_T1_jPSH_T2_SH_ ; -- Begin function _ZN7rocprim17ROCPRIM_304000_NS6detail45device_block_merge_mergepath_partition_kernelINS1_37wrapped_merge_sort_block_merge_configINS0_14default_configEtN2at4cuda3cub6detail10OpaqueTypeILi8EEEEEPtjNS1_19radix_merge_compareILb0ELb0EtNS0_19identity_decomposerEEEEEvT0_T1_jPSH_T2_SH_
	.globl	_ZN7rocprim17ROCPRIM_304000_NS6detail45device_block_merge_mergepath_partition_kernelINS1_37wrapped_merge_sort_block_merge_configINS0_14default_configEtN2at4cuda3cub6detail10OpaqueTypeILi8EEEEEPtjNS1_19radix_merge_compareILb0ELb0EtNS0_19identity_decomposerEEEEEvT0_T1_jPSH_T2_SH_
	.p2align	8
	.type	_ZN7rocprim17ROCPRIM_304000_NS6detail45device_block_merge_mergepath_partition_kernelINS1_37wrapped_merge_sort_block_merge_configINS0_14default_configEtN2at4cuda3cub6detail10OpaqueTypeILi8EEEEEPtjNS1_19radix_merge_compareILb0ELb0EtNS0_19identity_decomposerEEEEEvT0_T1_jPSH_T2_SH_,@function
_ZN7rocprim17ROCPRIM_304000_NS6detail45device_block_merge_mergepath_partition_kernelINS1_37wrapped_merge_sort_block_merge_configINS0_14default_configEtN2at4cuda3cub6detail10OpaqueTypeILi8EEEEEPtjNS1_19radix_merge_compareILb0ELb0EtNS0_19identity_decomposerEEEEEvT0_T1_jPSH_T2_SH_: ; @_ZN7rocprim17ROCPRIM_304000_NS6detail45device_block_merge_mergepath_partition_kernelINS1_37wrapped_merge_sort_block_merge_configINS0_14default_configEtN2at4cuda3cub6detail10OpaqueTypeILi8EEEEEPtjNS1_19radix_merge_compareILb0ELb0EtNS0_19identity_decomposerEEEEEvT0_T1_jPSH_T2_SH_
; %bb.0:
	s_load_dwordx2 s[0:1], s[4:5], 0x8
	v_lshl_or_b32 v0, s6, 7, v0
	s_waitcnt lgkmcnt(0)
	v_cmp_gt_u32_e32 vcc, s1, v0
	s_and_saveexec_b64 s[2:3], vcc
	s_cbranch_execz .LBB17_6
; %bb.1:
	s_load_dword s1, s[4:5], 0x1c
	s_waitcnt lgkmcnt(0)
	s_lshr_b32 s2, s1, 9
	s_and_b32 s2, s2, 0x7ffffe
	s_add_i32 s3, s2, -1
	s_sub_i32 s2, 0, s2
	v_and_b32_e32 v1, s2, v0
	v_lshlrev_b32_e32 v3, 10, v1
	v_min_u32_e32 v1, s0, v3
	v_add_u32_e32 v3, s1, v3
	v_min_u32_e32 v3, s0, v3
	v_add_u32_e32 v4, s1, v3
	v_and_b32_e32 v2, s3, v0
	v_min_u32_e32 v4, s0, v4
	v_lshlrev_b32_e32 v2, 10, v2
	v_sub_u32_e32 v5, v4, v1
	v_min_u32_e32 v6, v5, v2
	v_sub_u32_e32 v2, v3, v1
	v_sub_u32_e32 v4, v4, v3
	v_sub_u32_e64 v5, v6, v4 clamp
	v_min_u32_e32 v7, v6, v2
	v_cmp_lt_u32_e32 vcc, v5, v7
	s_and_saveexec_b64 s[0:1], vcc
	s_cbranch_execz .LBB17_5
; %bb.2:
	s_load_dwordx2 s[2:3], s[4:5], 0x0
	v_mov_b32_e32 v4, 0
	v_mov_b32_e32 v2, v4
	v_lshlrev_b64 v[8:9], 1, v[1:2]
	s_waitcnt lgkmcnt(0)
	v_mov_b32_e32 v11, s3
	v_add_co_u32_e32 v2, vcc, s2, v8
	v_addc_co_u32_e32 v8, vcc, v11, v9, vcc
	v_lshlrev_b64 v[9:10], 1, v[3:4]
	v_add_co_u32_e32 v9, vcc, s2, v9
	v_addc_co_u32_e32 v10, vcc, v11, v10, vcc
	s_mov_b64 s[2:3], 0
.LBB17_3:                               ; =>This Inner Loop Header: Depth=1
	v_add_u32_e32 v3, v7, v5
	v_and_b32_e32 v11, -2, v3
	v_lshrrev_b32_e32 v13, 1, v3
	v_add_co_u32_e32 v11, vcc, v2, v11
	v_xad_u32 v3, v13, -1, v6
	v_addc_co_u32_e32 v12, vcc, 0, v8, vcc
	global_load_ushort v14, v[11:12], off
	v_lshlrev_b64 v[11:12], 1, v[3:4]
	v_add_co_u32_e32 v11, vcc, v9, v11
	v_addc_co_u32_e32 v12, vcc, v10, v12, vcc
	global_load_ushort v3, v[11:12], off
	v_add_u32_e32 v11, 1, v13
	s_waitcnt vmcnt(0)
	v_cmp_gt_u16_e32 vcc, v14, v3
	v_cndmask_b32_e32 v7, v7, v13, vcc
	v_cndmask_b32_e32 v5, v11, v5, vcc
	v_cmp_ge_u32_e32 vcc, v5, v7
	s_or_b64 s[2:3], vcc, s[2:3]
	s_andn2_b64 exec, exec, s[2:3]
	s_cbranch_execnz .LBB17_3
; %bb.4:
	s_or_b64 exec, exec, s[2:3]
.LBB17_5:
	s_or_b64 exec, exec, s[0:1]
	s_load_dwordx2 s[0:1], s[4:5], 0x10
	v_add_u32_e32 v2, v5, v1
	v_mov_b32_e32 v1, 0
	v_lshlrev_b64 v[0:1], 2, v[0:1]
	s_waitcnt lgkmcnt(0)
	v_mov_b32_e32 v3, s1
	v_add_co_u32_e32 v0, vcc, s0, v0
	v_addc_co_u32_e32 v1, vcc, v3, v1, vcc
	global_store_dword v[0:1], v2, off
.LBB17_6:
	s_endpgm
	.section	.rodata,"a",@progbits
	.p2align	6, 0x0
	.amdhsa_kernel _ZN7rocprim17ROCPRIM_304000_NS6detail45device_block_merge_mergepath_partition_kernelINS1_37wrapped_merge_sort_block_merge_configINS0_14default_configEtN2at4cuda3cub6detail10OpaqueTypeILi8EEEEEPtjNS1_19radix_merge_compareILb0ELb0EtNS0_19identity_decomposerEEEEEvT0_T1_jPSH_T2_SH_
		.amdhsa_group_segment_fixed_size 0
		.amdhsa_private_segment_fixed_size 0
		.amdhsa_kernarg_size 32
		.amdhsa_user_sgpr_count 6
		.amdhsa_user_sgpr_private_segment_buffer 1
		.amdhsa_user_sgpr_dispatch_ptr 0
		.amdhsa_user_sgpr_queue_ptr 0
		.amdhsa_user_sgpr_kernarg_segment_ptr 1
		.amdhsa_user_sgpr_dispatch_id 0
		.amdhsa_user_sgpr_flat_scratch_init 0
		.amdhsa_user_sgpr_private_segment_size 0
		.amdhsa_uses_dynamic_stack 0
		.amdhsa_system_sgpr_private_segment_wavefront_offset 0
		.amdhsa_system_sgpr_workgroup_id_x 1
		.amdhsa_system_sgpr_workgroup_id_y 0
		.amdhsa_system_sgpr_workgroup_id_z 0
		.amdhsa_system_sgpr_workgroup_info 0
		.amdhsa_system_vgpr_workitem_id 0
		.amdhsa_next_free_vgpr 15
		.amdhsa_next_free_sgpr 7
		.amdhsa_reserve_vcc 1
		.amdhsa_reserve_flat_scratch 0
		.amdhsa_float_round_mode_32 0
		.amdhsa_float_round_mode_16_64 0
		.amdhsa_float_denorm_mode_32 3
		.amdhsa_float_denorm_mode_16_64 3
		.amdhsa_dx10_clamp 1
		.amdhsa_ieee_mode 1
		.amdhsa_fp16_overflow 0
		.amdhsa_exception_fp_ieee_invalid_op 0
		.amdhsa_exception_fp_denorm_src 0
		.amdhsa_exception_fp_ieee_div_zero 0
		.amdhsa_exception_fp_ieee_overflow 0
		.amdhsa_exception_fp_ieee_underflow 0
		.amdhsa_exception_fp_ieee_inexact 0
		.amdhsa_exception_int_div_zero 0
	.end_amdhsa_kernel
	.section	.text._ZN7rocprim17ROCPRIM_304000_NS6detail45device_block_merge_mergepath_partition_kernelINS1_37wrapped_merge_sort_block_merge_configINS0_14default_configEtN2at4cuda3cub6detail10OpaqueTypeILi8EEEEEPtjNS1_19radix_merge_compareILb0ELb0EtNS0_19identity_decomposerEEEEEvT0_T1_jPSH_T2_SH_,"axG",@progbits,_ZN7rocprim17ROCPRIM_304000_NS6detail45device_block_merge_mergepath_partition_kernelINS1_37wrapped_merge_sort_block_merge_configINS0_14default_configEtN2at4cuda3cub6detail10OpaqueTypeILi8EEEEEPtjNS1_19radix_merge_compareILb0ELb0EtNS0_19identity_decomposerEEEEEvT0_T1_jPSH_T2_SH_,comdat
.Lfunc_end17:
	.size	_ZN7rocprim17ROCPRIM_304000_NS6detail45device_block_merge_mergepath_partition_kernelINS1_37wrapped_merge_sort_block_merge_configINS0_14default_configEtN2at4cuda3cub6detail10OpaqueTypeILi8EEEEEPtjNS1_19radix_merge_compareILb0ELb0EtNS0_19identity_decomposerEEEEEvT0_T1_jPSH_T2_SH_, .Lfunc_end17-_ZN7rocprim17ROCPRIM_304000_NS6detail45device_block_merge_mergepath_partition_kernelINS1_37wrapped_merge_sort_block_merge_configINS0_14default_configEtN2at4cuda3cub6detail10OpaqueTypeILi8EEEEEPtjNS1_19radix_merge_compareILb0ELb0EtNS0_19identity_decomposerEEEEEvT0_T1_jPSH_T2_SH_
                                        ; -- End function
	.set _ZN7rocprim17ROCPRIM_304000_NS6detail45device_block_merge_mergepath_partition_kernelINS1_37wrapped_merge_sort_block_merge_configINS0_14default_configEtN2at4cuda3cub6detail10OpaqueTypeILi8EEEEEPtjNS1_19radix_merge_compareILb0ELb0EtNS0_19identity_decomposerEEEEEvT0_T1_jPSH_T2_SH_.num_vgpr, 15
	.set _ZN7rocprim17ROCPRIM_304000_NS6detail45device_block_merge_mergepath_partition_kernelINS1_37wrapped_merge_sort_block_merge_configINS0_14default_configEtN2at4cuda3cub6detail10OpaqueTypeILi8EEEEEPtjNS1_19radix_merge_compareILb0ELb0EtNS0_19identity_decomposerEEEEEvT0_T1_jPSH_T2_SH_.num_agpr, 0
	.set _ZN7rocprim17ROCPRIM_304000_NS6detail45device_block_merge_mergepath_partition_kernelINS1_37wrapped_merge_sort_block_merge_configINS0_14default_configEtN2at4cuda3cub6detail10OpaqueTypeILi8EEEEEPtjNS1_19radix_merge_compareILb0ELb0EtNS0_19identity_decomposerEEEEEvT0_T1_jPSH_T2_SH_.numbered_sgpr, 7
	.set _ZN7rocprim17ROCPRIM_304000_NS6detail45device_block_merge_mergepath_partition_kernelINS1_37wrapped_merge_sort_block_merge_configINS0_14default_configEtN2at4cuda3cub6detail10OpaqueTypeILi8EEEEEPtjNS1_19radix_merge_compareILb0ELb0EtNS0_19identity_decomposerEEEEEvT0_T1_jPSH_T2_SH_.num_named_barrier, 0
	.set _ZN7rocprim17ROCPRIM_304000_NS6detail45device_block_merge_mergepath_partition_kernelINS1_37wrapped_merge_sort_block_merge_configINS0_14default_configEtN2at4cuda3cub6detail10OpaqueTypeILi8EEEEEPtjNS1_19radix_merge_compareILb0ELb0EtNS0_19identity_decomposerEEEEEvT0_T1_jPSH_T2_SH_.private_seg_size, 0
	.set _ZN7rocprim17ROCPRIM_304000_NS6detail45device_block_merge_mergepath_partition_kernelINS1_37wrapped_merge_sort_block_merge_configINS0_14default_configEtN2at4cuda3cub6detail10OpaqueTypeILi8EEEEEPtjNS1_19radix_merge_compareILb0ELb0EtNS0_19identity_decomposerEEEEEvT0_T1_jPSH_T2_SH_.uses_vcc, 1
	.set _ZN7rocprim17ROCPRIM_304000_NS6detail45device_block_merge_mergepath_partition_kernelINS1_37wrapped_merge_sort_block_merge_configINS0_14default_configEtN2at4cuda3cub6detail10OpaqueTypeILi8EEEEEPtjNS1_19radix_merge_compareILb0ELb0EtNS0_19identity_decomposerEEEEEvT0_T1_jPSH_T2_SH_.uses_flat_scratch, 0
	.set _ZN7rocprim17ROCPRIM_304000_NS6detail45device_block_merge_mergepath_partition_kernelINS1_37wrapped_merge_sort_block_merge_configINS0_14default_configEtN2at4cuda3cub6detail10OpaqueTypeILi8EEEEEPtjNS1_19radix_merge_compareILb0ELb0EtNS0_19identity_decomposerEEEEEvT0_T1_jPSH_T2_SH_.has_dyn_sized_stack, 0
	.set _ZN7rocprim17ROCPRIM_304000_NS6detail45device_block_merge_mergepath_partition_kernelINS1_37wrapped_merge_sort_block_merge_configINS0_14default_configEtN2at4cuda3cub6detail10OpaqueTypeILi8EEEEEPtjNS1_19radix_merge_compareILb0ELb0EtNS0_19identity_decomposerEEEEEvT0_T1_jPSH_T2_SH_.has_recursion, 0
	.set _ZN7rocprim17ROCPRIM_304000_NS6detail45device_block_merge_mergepath_partition_kernelINS1_37wrapped_merge_sort_block_merge_configINS0_14default_configEtN2at4cuda3cub6detail10OpaqueTypeILi8EEEEEPtjNS1_19radix_merge_compareILb0ELb0EtNS0_19identity_decomposerEEEEEvT0_T1_jPSH_T2_SH_.has_indirect_call, 0
	.section	.AMDGPU.csdata,"",@progbits
; Kernel info:
; codeLenInByte = 356
; TotalNumSgprs: 11
; NumVgprs: 15
; ScratchSize: 0
; MemoryBound: 0
; FloatMode: 240
; IeeeMode: 1
; LDSByteSize: 0 bytes/workgroup (compile time only)
; SGPRBlocks: 1
; VGPRBlocks: 3
; NumSGPRsForWavesPerEU: 11
; NumVGPRsForWavesPerEU: 15
; Occupancy: 10
; WaveLimiterHint : 0
; COMPUTE_PGM_RSRC2:SCRATCH_EN: 0
; COMPUTE_PGM_RSRC2:USER_SGPR: 6
; COMPUTE_PGM_RSRC2:TRAP_HANDLER: 0
; COMPUTE_PGM_RSRC2:TGID_X_EN: 1
; COMPUTE_PGM_RSRC2:TGID_Y_EN: 0
; COMPUTE_PGM_RSRC2:TGID_Z_EN: 0
; COMPUTE_PGM_RSRC2:TIDIG_COMP_CNT: 0
	.section	.text._ZN7rocprim17ROCPRIM_304000_NS6detail35device_block_merge_mergepath_kernelINS1_37wrapped_merge_sort_block_merge_configINS0_14default_configEtN2at4cuda3cub6detail10OpaqueTypeILi8EEEEEPtSC_PSA_SD_jNS1_19radix_merge_compareILb0ELb0EtNS0_19identity_decomposerEEEEEvT0_T1_T2_T3_T4_SL_jT5_PKSL_NS1_7vsmem_tE,"axG",@progbits,_ZN7rocprim17ROCPRIM_304000_NS6detail35device_block_merge_mergepath_kernelINS1_37wrapped_merge_sort_block_merge_configINS0_14default_configEtN2at4cuda3cub6detail10OpaqueTypeILi8EEEEEPtSC_PSA_SD_jNS1_19radix_merge_compareILb0ELb0EtNS0_19identity_decomposerEEEEEvT0_T1_T2_T3_T4_SL_jT5_PKSL_NS1_7vsmem_tE,comdat
	.protected	_ZN7rocprim17ROCPRIM_304000_NS6detail35device_block_merge_mergepath_kernelINS1_37wrapped_merge_sort_block_merge_configINS0_14default_configEtN2at4cuda3cub6detail10OpaqueTypeILi8EEEEEPtSC_PSA_SD_jNS1_19radix_merge_compareILb0ELb0EtNS0_19identity_decomposerEEEEEvT0_T1_T2_T3_T4_SL_jT5_PKSL_NS1_7vsmem_tE ; -- Begin function _ZN7rocprim17ROCPRIM_304000_NS6detail35device_block_merge_mergepath_kernelINS1_37wrapped_merge_sort_block_merge_configINS0_14default_configEtN2at4cuda3cub6detail10OpaqueTypeILi8EEEEEPtSC_PSA_SD_jNS1_19radix_merge_compareILb0ELb0EtNS0_19identity_decomposerEEEEEvT0_T1_T2_T3_T4_SL_jT5_PKSL_NS1_7vsmem_tE
	.globl	_ZN7rocprim17ROCPRIM_304000_NS6detail35device_block_merge_mergepath_kernelINS1_37wrapped_merge_sort_block_merge_configINS0_14default_configEtN2at4cuda3cub6detail10OpaqueTypeILi8EEEEEPtSC_PSA_SD_jNS1_19radix_merge_compareILb0ELb0EtNS0_19identity_decomposerEEEEEvT0_T1_T2_T3_T4_SL_jT5_PKSL_NS1_7vsmem_tE
	.p2align	8
	.type	_ZN7rocprim17ROCPRIM_304000_NS6detail35device_block_merge_mergepath_kernelINS1_37wrapped_merge_sort_block_merge_configINS0_14default_configEtN2at4cuda3cub6detail10OpaqueTypeILi8EEEEEPtSC_PSA_SD_jNS1_19radix_merge_compareILb0ELb0EtNS0_19identity_decomposerEEEEEvT0_T1_T2_T3_T4_SL_jT5_PKSL_NS1_7vsmem_tE,@function
_ZN7rocprim17ROCPRIM_304000_NS6detail35device_block_merge_mergepath_kernelINS1_37wrapped_merge_sort_block_merge_configINS0_14default_configEtN2at4cuda3cub6detail10OpaqueTypeILi8EEEEEPtSC_PSA_SD_jNS1_19radix_merge_compareILb0ELb0EtNS0_19identity_decomposerEEEEEvT0_T1_T2_T3_T4_SL_jT5_PKSL_NS1_7vsmem_tE: ; @_ZN7rocprim17ROCPRIM_304000_NS6detail35device_block_merge_mergepath_kernelINS1_37wrapped_merge_sort_block_merge_configINS0_14default_configEtN2at4cuda3cub6detail10OpaqueTypeILi8EEEEEPtSC_PSA_SD_jNS1_19radix_merge_compareILb0ELb0EtNS0_19identity_decomposerEEEEEvT0_T1_T2_T3_T4_SL_jT5_PKSL_NS1_7vsmem_tE
; %bb.0:
	s_load_dwordx2 s[10:11], s[4:5], 0x40
	s_load_dwordx4 s[20:23], s[4:5], 0x20
	s_add_u32 s2, s4, 64
	s_addc_u32 s3, s5, 0
	s_waitcnt lgkmcnt(0)
	s_mul_i32 s0, s11, s8
	s_add_i32 s0, s0, s7
	s_mul_i32 s0, s0, s10
	s_add_i32 s0, s0, s6
	s_cmp_ge_u32 s0, s22
	s_cbranch_scc1 .LBB18_105
; %bb.1:
	s_load_dwordx8 s[12:19], s[4:5], 0x0
	s_load_dwordx2 s[8:9], s[4:5], 0x30
	s_lshr_b32 s11, s20, 10
	s_cmp_lg_u32 s0, s11
	s_mov_b32 s1, 0
	s_cselect_b64 s[24:25], -1, 0
	s_lshl_b64 s[4:5], s[0:1], 2
	s_waitcnt lgkmcnt(0)
	s_add_u32 s4, s8, s4
	s_addc_u32 s5, s9, s5
	s_load_dwordx2 s[26:27], s[4:5], 0x0
	s_lshr_b32 s4, s21, 9
	s_and_b32 s4, s4, 0x7ffffe
	s_sub_i32 s4, 0, s4
	s_and_b32 s5, s0, s4
	s_lshl_b32 s7, s5, 10
	s_lshl_b32 s22, s0, 10
	;; [unrolled: 1-line block ×3, first 2 shown]
	s_sub_i32 s8, s22, s7
	s_add_i32 s5, s5, s21
	s_add_i32 s8, s5, s8
	s_waitcnt lgkmcnt(0)
	s_sub_i32 s9, s8, s26
	s_sub_i32 s8, s8, s27
	;; [unrolled: 1-line block ×3, first 2 shown]
	s_min_u32 s28, s20, s9
	s_addk_i32 s8, 0x400
	s_or_b32 s4, s0, s4
	s_min_u32 s7, s20, s5
	s_add_i32 s5, s5, s21
	s_cmp_eq_u32 s4, -1
	s_cselect_b32 s4, s5, s8
	s_cselect_b32 s5, s7, s27
	s_min_u32 s4, s4, s20
	s_mov_b32 s27, s1
	s_sub_i32 s23, s5, s26
	s_sub_i32 s33, s4, s28
	s_lshl_b64 s[8:9], s[26:27], 1
	s_add_u32 s5, s12, s8
	s_mov_b32 s29, s1
	s_addc_u32 s7, s13, s9
	s_lshl_b64 s[8:9], s[28:29], 1
	s_add_u32 s4, s12, s8
	v_mov_b32_e32 v6, 0
	global_load_dword v1, v6, s[2:3] offset:14
	s_addc_u32 s8, s13, s9
	s_cmp_lt_u32 s6, s10
	s_cselect_b32 s1, 12, 18
	s_add_u32 s2, s2, s1
	s_addc_u32 s3, s3, 0
	global_load_ushort v2, v6, s[2:3]
	s_cmp_eq_u32 s0, s11
	v_cmp_gt_u32_e32 vcc, s23, v0
	v_lshlrev_b32_e32 v9, 1, v0
	s_waitcnt vmcnt(1)
	v_lshrrev_b32_e32 v3, 16, v1
	v_and_b32_e32 v1, 0xffff, v1
	v_mul_lo_u32 v1, v1, v3
	s_waitcnt vmcnt(0)
	v_mul_lo_u32 v7, v1, v2
	v_add_u32_e32 v5, v7, v0
	s_cbranch_scc1 .LBB18_3
; %bb.2:
	v_mov_b32_e32 v1, s7
	v_add_co_u32_e64 v3, s[0:1], s5, v9
	v_subrev_u32_e32 v2, s23, v0
	v_addc_co_u32_e64 v1, s[0:1], 0, v1, s[0:1]
	v_lshlrev_b32_e32 v2, 1, v2
	v_mov_b32_e32 v4, s8
	v_add_co_u32_e64 v8, s[0:1], s4, v2
	v_addc_co_u32_e64 v2, s[0:1], 0, v4, s[0:1]
	v_cndmask_b32_e32 v2, v2, v1, vcc
	v_cndmask_b32_e32 v1, v8, v3, vcc
	global_load_ushort v4, v[1:2], off
	v_lshlrev_b64 v[1:2], 1, v[5:6]
	v_mov_b32_e32 v3, s7
	v_add_co_u32_e32 v8, vcc, s5, v1
	v_addc_co_u32_e32 v3, vcc, v3, v2, vcc
	v_subrev_co_u32_e32 v1, vcc, s23, v5
	v_mov_b32_e32 v2, v6
	v_lshlrev_b64 v[1:2], 1, v[1:2]
	v_mov_b32_e32 v10, s8
	v_add_co_u32_e64 v1, s[0:1], s4, v1
	v_addc_co_u32_e64 v2, s[0:1], v10, v2, s[0:1]
	v_cndmask_b32_e32 v2, v2, v3, vcc
	v_cndmask_b32_e32 v1, v1, v8, vcc
	global_load_ushort v8, v[1:2], off
	v_add_u32_e32 v1, v5, v7
	v_mov_b32_e32 v2, v6
	v_lshlrev_b64 v[2:3], 1, v[1:2]
	v_mov_b32_e32 v10, s7
	v_add_co_u32_e32 v11, vcc, s5, v2
	v_addc_co_u32_e32 v10, vcc, v10, v3, vcc
	v_subrev_co_u32_e32 v2, vcc, s23, v1
	v_mov_b32_e32 v3, v6
	v_lshlrev_b64 v[2:3], 1, v[2:3]
	v_mov_b32_e32 v12, s8
	v_add_co_u32_e64 v2, s[0:1], s4, v2
	v_addc_co_u32_e64 v3, s[0:1], v12, v3, s[0:1]
	v_cndmask_b32_e32 v3, v3, v10, vcc
	v_cndmask_b32_e32 v2, v2, v11, vcc
	global_load_ushort v10, v[2:3], off
	v_add_u32_e32 v1, v1, v7
	v_mov_b32_e32 v2, v6
	;; [unrolled: 15-line block ×6, first 2 shown]
	v_lshlrev_b64 v[2:3], 1, v[1:2]
	v_mov_b32_e32 v15, s7
	v_add_co_u32_e32 v16, vcc, s5, v2
	v_addc_co_u32_e32 v3, vcc, v15, v3, vcc
	v_subrev_co_u32_e32 v1, vcc, s23, v1
	v_mov_b32_e32 v2, v6
	v_lshlrev_b64 v[1:2], 1, v[1:2]
	v_mov_b32_e32 v6, s8
	v_add_co_u32_e64 v1, s[0:1], s4, v1
	v_addc_co_u32_e64 v2, s[0:1], v6, v2, s[0:1]
	v_cndmask_b32_e32 v2, v2, v3, vcc
	v_cndmask_b32_e32 v1, v1, v16, vcc
	global_load_ushort v6, v[1:2], off
	s_mov_b32 s0, 0x5040100
	s_waitcnt vmcnt(6)
	v_perm_b32 v1, v8, v4, s0
	s_waitcnt vmcnt(4)
	v_perm_b32 v2, v11, v10, s0
	s_add_i32 s21, s33, s23
	s_waitcnt vmcnt(2)
	v_perm_b32 v3, v13, v12, s0
	s_waitcnt vmcnt(0)
	v_perm_b32 v4, v6, v14, s0
	s_cbranch_execz .LBB18_4
	s_branch .LBB18_21
.LBB18_3:
                                        ; implicit-def: $vgpr1_vgpr2_vgpr3_vgpr4
                                        ; implicit-def: $sgpr21
.LBB18_4:
	s_add_i32 s21, s33, s23
	v_mov_b32_e32 v1, 0
	v_cmp_gt_u32_e32 vcc, s21, v0
	v_mov_b32_e32 v2, v1
	v_mov_b32_e32 v3, v1
	;; [unrolled: 1-line block ×3, first 2 shown]
	s_and_saveexec_b64 s[0:1], vcc
	s_cbranch_execz .LBB18_6
; %bb.5:
	v_mov_b32_e32 v2, s7
	v_add_co_u32_e32 v4, vcc, s5, v9
	v_subrev_u32_e32 v3, s23, v0
	v_addc_co_u32_e32 v2, vcc, 0, v2, vcc
	v_lshlrev_b32_e32 v3, 1, v3
	v_mov_b32_e32 v6, s8
	v_add_co_u32_e32 v8, vcc, s4, v3
	v_addc_co_u32_e32 v3, vcc, 0, v6, vcc
	v_cmp_gt_u32_e32 vcc, s23, v0
	v_cndmask_b32_e32 v3, v3, v2, vcc
	v_cndmask_b32_e32 v2, v8, v4, vcc
	global_load_ushort v2, v[2:3], off
	v_mov_b32_e32 v11, v1
	v_mov_b32_e32 v12, v1
	;; [unrolled: 1-line block ×3, first 2 shown]
	s_waitcnt vmcnt(0)
	v_and_b32_e32 v10, 0xffff, v2
	v_mov_b32_e32 v1, v10
	v_mov_b32_e32 v2, v11
	;; [unrolled: 1-line block ×4, first 2 shown]
.LBB18_6:
	s_or_b64 exec, exec, s[0:1]
	v_cmp_gt_u32_e32 vcc, s21, v5
	s_and_saveexec_b64 s[2:3], vcc
	s_cbranch_execz .LBB18_8
; %bb.7:
	v_mov_b32_e32 v6, 0
	v_lshlrev_b64 v[10:11], 1, v[5:6]
	v_mov_b32_e32 v8, s7
	v_add_co_u32_e32 v12, vcc, s5, v10
	v_addc_co_u32_e32 v8, vcc, v8, v11, vcc
	v_subrev_co_u32_e32 v10, vcc, s23, v5
	v_mov_b32_e32 v11, v6
	v_lshlrev_b64 v[10:11], 1, v[10:11]
	v_mov_b32_e32 v6, s8
	v_add_co_u32_e64 v10, s[0:1], s4, v10
	v_addc_co_u32_e64 v6, s[0:1], v6, v11, s[0:1]
	v_cndmask_b32_e32 v11, v6, v8, vcc
	v_cndmask_b32_e32 v10, v10, v12, vcc
	global_load_ushort v6, v[10:11], off
	s_mov_b32 s0, 0x5040100
	s_waitcnt vmcnt(0)
	v_perm_b32 v1, v6, v1, s0
.LBB18_8:
	s_or_b64 exec, exec, s[2:3]
	v_add_u32_e32 v5, v5, v7
	v_cmp_gt_u32_e32 vcc, s21, v5
	s_and_saveexec_b64 s[2:3], vcc
	s_cbranch_execz .LBB18_10
; %bb.9:
	v_mov_b32_e32 v6, 0
	v_lshlrev_b64 v[10:11], 1, v[5:6]
	v_mov_b32_e32 v8, s7
	v_add_co_u32_e32 v12, vcc, s5, v10
	v_addc_co_u32_e32 v8, vcc, v8, v11, vcc
	v_subrev_co_u32_e32 v10, vcc, s23, v5
	v_mov_b32_e32 v11, v6
	v_lshlrev_b64 v[10:11], 1, v[10:11]
	v_mov_b32_e32 v6, s8
	v_add_co_u32_e64 v10, s[0:1], s4, v10
	v_addc_co_u32_e64 v6, s[0:1], v6, v11, s[0:1]
	v_cndmask_b32_e32 v11, v6, v8, vcc
	v_cndmask_b32_e32 v10, v10, v12, vcc
	global_load_ushort v6, v[10:11], off
	s_mov_b32 s0, 0xffff
	s_waitcnt vmcnt(0)
	v_bfi_b32 v2, s0, v6, v2
.LBB18_10:
	s_or_b64 exec, exec, s[2:3]
	v_add_u32_e32 v5, v5, v7
	v_cmp_gt_u32_e32 vcc, s21, v5
	s_and_saveexec_b64 s[2:3], vcc
	s_cbranch_execz .LBB18_12
; %bb.11:
	v_mov_b32_e32 v6, 0
	v_lshlrev_b64 v[10:11], 1, v[5:6]
	v_mov_b32_e32 v8, s7
	v_add_co_u32_e32 v12, vcc, s5, v10
	v_addc_co_u32_e32 v8, vcc, v8, v11, vcc
	v_subrev_co_u32_e32 v10, vcc, s23, v5
	v_mov_b32_e32 v11, v6
	v_lshlrev_b64 v[10:11], 1, v[10:11]
	v_mov_b32_e32 v6, s8
	v_add_co_u32_e64 v10, s[0:1], s4, v10
	v_addc_co_u32_e64 v6, s[0:1], v6, v11, s[0:1]
	v_cndmask_b32_e32 v11, v6, v8, vcc
	v_cndmask_b32_e32 v10, v10, v12, vcc
	global_load_ushort v6, v[10:11], off
	s_mov_b32 s0, 0x5040100
	s_waitcnt vmcnt(0)
	v_perm_b32 v2, v6, v2, s0
.LBB18_12:
	s_or_b64 exec, exec, s[2:3]
	v_add_u32_e32 v5, v5, v7
	v_cmp_gt_u32_e32 vcc, s21, v5
	s_and_saveexec_b64 s[2:3], vcc
	s_cbranch_execz .LBB18_14
; %bb.13:
	v_mov_b32_e32 v6, 0
	v_lshlrev_b64 v[10:11], 1, v[5:6]
	v_mov_b32_e32 v8, s7
	v_add_co_u32_e32 v12, vcc, s5, v10
	v_addc_co_u32_e32 v8, vcc, v8, v11, vcc
	v_subrev_co_u32_e32 v10, vcc, s23, v5
	v_mov_b32_e32 v11, v6
	v_lshlrev_b64 v[10:11], 1, v[10:11]
	v_mov_b32_e32 v6, s8
	v_add_co_u32_e64 v10, s[0:1], s4, v10
	v_addc_co_u32_e64 v6, s[0:1], v6, v11, s[0:1]
	v_cndmask_b32_e32 v11, v6, v8, vcc
	v_cndmask_b32_e32 v10, v10, v12, vcc
	global_load_ushort v6, v[10:11], off
	s_mov_b32 s0, 0xffff
	s_waitcnt vmcnt(0)
	v_bfi_b32 v3, s0, v6, v3
.LBB18_14:
	s_or_b64 exec, exec, s[2:3]
	v_add_u32_e32 v5, v5, v7
	;; [unrolled: 48-line block ×3, first 2 shown]
	v_cmp_gt_u32_e32 vcc, s21, v5
	s_and_saveexec_b64 s[2:3], vcc
	s_cbranch_execz .LBB18_20
; %bb.19:
	v_mov_b32_e32 v6, 0
	v_lshlrev_b64 v[7:8], 1, v[5:6]
	v_mov_b32_e32 v10, s7
	v_add_co_u32_e32 v7, vcc, s5, v7
	v_addc_co_u32_e32 v8, vcc, v10, v8, vcc
	v_subrev_co_u32_e32 v5, vcc, s23, v5
	v_lshlrev_b64 v[5:6], 1, v[5:6]
	v_mov_b32_e32 v10, s8
	v_add_co_u32_e64 v5, s[0:1], s4, v5
	v_addc_co_u32_e64 v6, s[0:1], v10, v6, s[0:1]
	v_cndmask_b32_e32 v6, v6, v8, vcc
	v_cndmask_b32_e32 v5, v5, v7, vcc
	global_load_ushort v5, v[5:6], off
	s_mov_b32 s0, 0x5040100
	s_waitcnt vmcnt(0)
	v_perm_b32 v4, v5, v4, s0
.LBB18_20:
	s_or_b64 exec, exec, s[2:3]
.LBB18_21:
	v_lshlrev_b32_e32 v10, 3, v0
	v_min_u32_e32 v6, s21, v10
	v_sub_u32_e64 v5, v6, s33 clamp
	v_min_u32_e32 v7, s23, v6
	v_cmp_lt_u32_e32 vcc, v5, v7
	ds_write_b16 v9, v1
	ds_write_b16_d16_hi v9, v1 offset:256
	ds_write_b16 v9, v2 offset:512
	ds_write_b16_d16_hi v9, v2 offset:768
	ds_write_b16 v9, v3 offset:1024
	ds_write_b16_d16_hi v9, v3 offset:1280
	ds_write_b16 v9, v4 offset:1536
	ds_write_b16_d16_hi v9, v4 offset:1792
	s_waitcnt lgkmcnt(0)
	s_barrier
	s_and_saveexec_b64 s[0:1], vcc
	s_cbranch_execz .LBB18_25
; %bb.22:
	v_lshlrev_b32_e32 v8, 1, v6
	v_lshl_add_u32 v8, s23, 1, v8
	s_mov_b64 s[2:3], 0
.LBB18_23:                              ; =>This Inner Loop Header: Depth=1
	v_add_u32_e32 v11, v7, v5
	v_lshrrev_b32_e32 v12, 1, v11
	v_not_b32_e32 v13, v12
	v_and_b32_e32 v11, -2, v11
	v_lshl_add_u32 v13, v13, 1, v8
	ds_read_u16 v11, v11
	ds_read_u16 v13, v13
	v_add_u32_e32 v14, 1, v12
	s_waitcnt lgkmcnt(0)
	v_cmp_gt_u16_e32 vcc, v11, v13
	v_cndmask_b32_e32 v7, v7, v12, vcc
	v_cndmask_b32_e32 v5, v14, v5, vcc
	v_cmp_ge_u32_e32 vcc, v5, v7
	s_or_b64 s[2:3], vcc, s[2:3]
	s_andn2_b64 exec, exec, s[2:3]
	s_cbranch_execnz .LBB18_23
; %bb.24:
	s_or_b64 exec, exec, s[2:3]
.LBB18_25:
	s_or_b64 exec, exec, s[0:1]
	v_sub_u32_e32 v6, v6, v5
	v_add_u32_e32 v6, s23, v6
	v_cmp_ge_u32_e32 vcc, s23, v5
	v_cmp_ge_u32_e64 s[0:1], s21, v6
	s_or_b64 s[0:1], vcc, s[0:1]
	v_mov_b32_e32 v11, 0
	v_mov_b32_e32 v12, 0
	;; [unrolled: 1-line block ×8, first 2 shown]
	s_and_saveexec_b64 s[30:31], s[0:1]
	s_cbranch_execz .LBB18_31
; %bb.26:
	v_cmp_gt_u32_e32 vcc, s23, v5
                                        ; implicit-def: $vgpr1
	s_and_saveexec_b64 s[0:1], vcc
; %bb.27:
	v_lshlrev_b32_e32 v1, 1, v5
	ds_read_u16 v1, v1
; %bb.28:
	s_or_b64 exec, exec, s[0:1]
	v_cmp_le_u32_e64 s[0:1], s21, v6
	v_cmp_gt_u32_e64 s[2:3], s21, v6
                                        ; implicit-def: $vgpr2
	s_and_saveexec_b64 s[4:5], s[2:3]
; %bb.29:
	v_lshlrev_b32_e32 v2, 1, v6
	ds_read_u16 v2, v2
; %bb.30:
	s_or_b64 exec, exec, s[4:5]
	s_waitcnt lgkmcnt(0)
	v_cmp_le_u16_e64 s[2:3], v1, v2
	s_and_b64 s[2:3], vcc, s[2:3]
	s_or_b64 vcc, s[0:1], s[2:3]
	v_mov_b32_e32 v3, s21
	v_mov_b32_e32 v4, s23
	v_cndmask_b32_e32 v18, v6, v5, vcc
	v_cndmask_b32_e32 v7, v3, v4, vcc
	v_add_u32_e32 v8, 1, v18
	v_add_u32_e32 v7, -1, v7
	v_min_u32_e32 v7, v8, v7
	v_lshlrev_b32_e32 v7, 1, v7
	ds_read_u16 v7, v7
	v_cndmask_b32_e32 v5, v5, v8, vcc
	v_cndmask_b32_e32 v6, v8, v6, vcc
	v_cmp_gt_u32_e64 s[2:3], s23, v5
	v_cmp_le_u32_e64 s[0:1], s21, v6
	s_waitcnt lgkmcnt(0)
	v_cndmask_b32_e32 v11, v7, v2, vcc
	v_cndmask_b32_e32 v7, v1, v7, vcc
	v_cmp_le_u16_e64 s[4:5], v7, v11
	s_and_b64 s[2:3], s[2:3], s[4:5]
	s_or_b64 s[0:1], s[0:1], s[2:3]
	v_cndmask_b32_e64 v17, v6, v5, s[0:1]
	v_cndmask_b32_e64 v8, v3, v4, s[0:1]
	v_add_u32_e32 v12, 1, v17
	v_add_u32_e32 v8, -1, v8
	v_min_u32_e32 v8, v12, v8
	v_lshlrev_b32_e32 v8, 1, v8
	ds_read_u16 v8, v8
	v_cndmask_b32_e64 v5, v5, v12, s[0:1]
	v_cndmask_b32_e64 v6, v12, v6, s[0:1]
	v_cmp_gt_u32_e64 s[4:5], s23, v5
	v_cmp_le_u32_e64 s[2:3], s21, v6
	s_waitcnt lgkmcnt(0)
	v_cndmask_b32_e64 v19, v8, v11, s[0:1]
	v_cndmask_b32_e64 v8, v7, v8, s[0:1]
	v_cmp_le_u16_e64 s[6:7], v8, v19
	s_and_b64 s[4:5], s[4:5], s[6:7]
	s_or_b64 s[2:3], s[2:3], s[4:5]
	v_cndmask_b32_e64 v16, v6, v5, s[2:3]
	v_cndmask_b32_e64 v12, v3, v4, s[2:3]
	v_add_u32_e32 v13, 1, v16
	v_add_u32_e32 v12, -1, v12
	v_min_u32_e32 v12, v13, v12
	v_lshlrev_b32_e32 v12, 1, v12
	ds_read_u16 v12, v12
	v_cndmask_b32_e64 v5, v5, v13, s[2:3]
	v_cndmask_b32_e64 v6, v13, v6, s[2:3]
	v_cmp_gt_u32_e64 s[6:7], s23, v5
	v_cmp_le_u32_e64 s[4:5], s21, v6
	s_waitcnt lgkmcnt(0)
	v_cndmask_b32_e64 v20, v12, v19, s[2:3]
	v_cndmask_b32_e64 v21, v8, v12, s[2:3]
	;; [unrolled: 17-line block ×4, first 2 shown]
	v_cmp_le_u16_e64 s[12:13], v25, v24
	s_and_b64 s[10:11], s[10:11], s[12:13]
	s_or_b64 s[8:9], s[8:9], s[10:11]
	v_cndmask_b32_e64 v13, v6, v5, s[8:9]
	v_cndmask_b32_e64 v12, v3, v4, s[8:9]
	v_add_u32_e32 v26, 1, v13
	v_add_u32_e32 v12, -1, v12
	v_min_u32_e32 v12, v26, v12
	v_lshlrev_b32_e32 v12, 1, v12
	ds_read_u16 v12, v12
	v_cndmask_b32_e32 v1, v2, v1, vcc
	v_cndmask_b32_e64 v7, v11, v7, s[0:1]
	v_cndmask_b32_e64 v2, v19, v8, s[2:3]
	;; [unrolled: 1-line block ×3, first 2 shown]
	s_waitcnt lgkmcnt(0)
	v_cndmask_b32_e64 v8, v12, v24, s[8:9]
	v_cndmask_b32_e64 v11, v25, v12, s[8:9]
	;; [unrolled: 1-line block ×3, first 2 shown]
	v_cmp_gt_u32_e64 s[0:1], s23, v5
	v_cmp_le_u16_e64 s[2:3], v11, v8
	v_cmp_le_u32_e32 vcc, s21, v6
	s_and_b64 s[0:1], s[0:1], s[2:3]
	s_or_b64 vcc, vcc, s[0:1]
	v_cndmask_b32_e32 v12, v6, v5, vcc
	v_cndmask_b32_e32 v3, v3, v4, vcc
	v_add_u32_e32 v4, 1, v12
	v_add_u32_e32 v3, -1, v3
	v_min_u32_e32 v3, v4, v3
	v_lshlrev_b32_e32 v3, 1, v3
	ds_read_u16 v3, v3
	v_cndmask_b32_e64 v19, v20, v21, s[4:5]
	v_cndmask_b32_e64 v20, v22, v23, s[6:7]
	v_cndmask_b32_e32 v22, v8, v11, vcc
	v_cndmask_b32_e32 v6, v4, v6, vcc
	s_waitcnt lgkmcnt(0)
	v_cndmask_b32_e32 v8, v3, v8, vcc
	v_cndmask_b32_e32 v3, v11, v3, vcc
	;; [unrolled: 1-line block ×3, first 2 shown]
	v_cmp_gt_u32_e64 s[0:1], s23, v4
	v_cmp_le_u16_e64 s[2:3], v3, v8
	v_cmp_le_u32_e32 vcc, s21, v6
	s_and_b64 s[0:1], s[0:1], s[2:3]
	s_or_b64 vcc, vcc, s[0:1]
	v_cndmask_b32_e64 v21, v24, v25, s[8:9]
	v_cndmask_b32_e32 v3, v8, v3, vcc
	s_mov_b32 s0, 0x5040100
	v_cndmask_b32_e32 v11, v6, v4, vcc
	v_perm_b32 v4, v3, v22, s0
	v_perm_b32 v3, v21, v20, s0
	;; [unrolled: 1-line block ×4, first 2 shown]
.LBB18_31:
	s_or_b64 exec, exec, s[30:31]
	s_lshl_b64 s[0:1], s[26:27], 3
	s_add_u32 s8, s16, s0
	s_addc_u32 s9, s17, s1
	s_lshl_b64 s[0:1], s[28:29], 3
	s_add_u32 s6, s16, s0
	v_cndmask_b32_e64 v5, 0, 1, s[24:25]
	s_addc_u32 s7, s17, s1
	v_cmp_gt_u32_e64 s[4:5], s23, v0
	v_cmp_ne_u32_e64 s[0:1], 1, v5
	s_andn2_b64 vcc, exec, s[24:25]
	v_cmp_le_u32_e64 s[2:3], s23, v0
	s_barrier
	s_cbranch_vccnz .LBB18_33
; %bb.32:
	v_mov_b32_e32 v5, s9
	v_add_co_u32_e32 v7, vcc, s8, v10
	v_subrev_u32_e32 v6, s23, v0
	v_addc_co_u32_e32 v5, vcc, 0, v5, vcc
	v_lshlrev_b32_e32 v6, 3, v6
	v_mov_b32_e32 v8, s7
	v_add_co_u32_e32 v19, vcc, s6, v6
	v_addc_co_u32_e32 v6, vcc, 0, v8, vcc
	v_cndmask_b32_e64 v6, v6, v5, s[4:5]
	v_cndmask_b32_e64 v5, v19, v7, s[4:5]
	v_or_b32_e32 v7, 0x80, v0
	v_subrev_u32_e32 v8, s23, v7
	v_min_u32_e32 v8, v7, v8
	v_cmp_gt_u32_e32 vcc, s23, v7
	v_mov_b32_e32 v31, s6
	v_mov_b32_e32 v32, s8
	;; [unrolled: 1-line block ×4, first 2 shown]
	v_cndmask_b32_e32 v7, v31, v32, vcc
	v_lshlrev_b32_e32 v8, 3, v8
	v_cndmask_b32_e32 v19, v29, v30, vcc
	v_add_co_u32_e32 v7, vcc, v7, v8
	v_addc_co_u32_e32 v8, vcc, 0, v19, vcc
	v_or_b32_e32 v19, 0x100, v0
	v_subrev_u32_e32 v20, s23, v19
	v_min_u32_e32 v20, v19, v20
	v_cmp_gt_u32_e32 vcc, s23, v19
	v_cndmask_b32_e32 v19, v31, v32, vcc
	v_lshlrev_b32_e32 v20, 3, v20
	v_cndmask_b32_e32 v21, v29, v30, vcc
	v_add_co_u32_e32 v19, vcc, v19, v20
	v_addc_co_u32_e32 v20, vcc, 0, v21, vcc
	v_or_b32_e32 v21, 0x180, v0
	v_subrev_u32_e32 v22, s23, v21
	v_min_u32_e32 v22, v21, v22
	v_cmp_gt_u32_e32 vcc, s23, v21
	;; [unrolled: 9-line block ×5, first 2 shown]
	global_load_dwordx2 v[5:6], v[5:6], off
	v_cndmask_b32_e32 v27, v31, v32, vcc
	global_load_dwordx2 v[7:8], v[7:8], off
	v_lshlrev_b32_e32 v28, 3, v28
	global_load_dwordx2 v[19:20], v[19:20], off
	v_cndmask_b32_e32 v33, v29, v30, vcc
	global_load_dwordx2 v[21:22], v[21:22], off
	v_add_co_u32_e32 v27, vcc, v27, v28
	global_load_dwordx2 v[23:24], v[23:24], off
	v_addc_co_u32_e32 v28, vcc, 0, v33, vcc
	global_load_dwordx2 v[25:26], v[25:26], off
	s_nop 0
	global_load_dwordx2 v[27:28], v[27:28], off
	s_mov_b64 s[4:5], -1
	s_waitcnt vmcnt(5)
	ds_write2st64_b64 v10, v[5:6], v[7:8] offset1:2
	s_waitcnt vmcnt(3)
	ds_write2st64_b64 v10, v[19:20], v[21:22] offset0:4 offset1:6
	s_waitcnt vmcnt(1)
	ds_write2st64_b64 v10, v[23:24], v[25:26] offset0:8 offset1:10
	s_waitcnt vmcnt(0)
	ds_write_b64 v10, v[27:28] offset:6144
	v_or_b32_e32 v19, 0x380, v0
	v_subrev_u32_e32 v5, s23, v19
	v_cmp_gt_u32_e32 vcc, s23, v19
	v_min_u32_e32 v7, v19, v5
	v_cndmask_b32_e32 v6, v29, v30, vcc
	v_cndmask_b32_e32 v5, v31, v32, vcc
	s_cbranch_execz .LBB18_34
	s_branch .LBB18_67
.LBB18_33:
	s_mov_b64 s[4:5], 0
                                        ; implicit-def: $vgpr19
                                        ; implicit-def: $vgpr5_vgpr6
                                        ; implicit-def: $vgpr7
.LBB18_34:
	s_and_saveexec_b64 s[4:5], s[2:3]
	s_xor_b64 s[2:3], exec, s[4:5]
	s_cbranch_execz .LBB18_38
; %bb.35:
	v_subrev_u32_e32 v5, s23, v0
	v_cmp_gt_u32_e32 vcc, s33, v5
	s_and_saveexec_b64 s[4:5], vcc
	s_cbranch_execz .LBB18_37
; %bb.36:
	v_lshlrev_b32_e32 v5, 3, v5
	global_load_dwordx2 v[5:6], v5, s[6:7]
	s_waitcnt vmcnt(0)
	ds_write_b64 v10, v[5:6]
.LBB18_37:
	s_or_b64 exec, exec, s[4:5]
.LBB18_38:
	s_or_saveexec_b64 s[2:3], s[2:3]
	v_mad_u32_u24 v7, v0, 6, v9
	s_xor_b64 exec, exec, s[2:3]
	s_cbranch_execz .LBB18_40
; %bb.39:
	global_load_dwordx2 v[5:6], v10, s[8:9]
	s_waitcnt vmcnt(0)
	ds_write_b64 v7, v[5:6]
.LBB18_40:
	s_or_b64 exec, exec, s[2:3]
	v_or_b32_e32 v8, 0x80, v0
	v_mov_b32_e32 v5, s26
	v_cmp_le_u32_e32 vcc, s23, v8
	s_mov_b64 s[2:3], -1
	v_mov_b32_e32 v6, s27
	s_and_saveexec_b64 s[4:5], vcc
; %bb.41:
	v_subrev_u32_e32 v8, s23, v8
	v_cmp_gt_u32_e32 vcc, s33, v8
	v_mov_b32_e32 v5, s28
	v_mov_b32_e32 v6, s29
	s_orn2_b64 s[2:3], vcc, exec
; %bb.42:
	s_or_b64 exec, exec, s[4:5]
	s_and_saveexec_b64 s[4:5], s[2:3]
	s_cbranch_execz .LBB18_44
; %bb.43:
	v_lshlrev_b64 v[5:6], 3, v[5:6]
	v_mov_b32_e32 v19, s17
	v_add_co_u32_e32 v5, vcc, s16, v5
	v_addc_co_u32_e32 v6, vcc, v19, v6, vcc
	v_lshlrev_b32_e32 v8, 3, v8
	v_add_co_u32_e32 v5, vcc, v5, v8
	v_addc_co_u32_e32 v6, vcc, 0, v6, vcc
	global_load_dwordx2 v[5:6], v[5:6], off
	s_waitcnt vmcnt(0)
	ds_write_b64 v7, v[5:6] offset:1024
.LBB18_44:
	s_or_b64 exec, exec, s[4:5]
	v_or_b32_e32 v8, 0x100, v0
	v_mov_b32_e32 v5, s26
	v_cmp_le_u32_e32 vcc, s23, v8
	s_mov_b64 s[2:3], -1
	v_mov_b32_e32 v6, s27
	s_and_saveexec_b64 s[4:5], vcc
; %bb.45:
	v_subrev_u32_e32 v8, s23, v8
	v_cmp_gt_u32_e32 vcc, s33, v8
	v_mov_b32_e32 v5, s28
	v_mov_b32_e32 v6, s29
	s_orn2_b64 s[2:3], vcc, exec
; %bb.46:
	s_or_b64 exec, exec, s[4:5]
	s_and_saveexec_b64 s[4:5], s[2:3]
	s_cbranch_execz .LBB18_48
; %bb.47:
	v_lshlrev_b64 v[5:6], 3, v[5:6]
	v_mov_b32_e32 v19, s17
	v_add_co_u32_e32 v5, vcc, s16, v5
	v_addc_co_u32_e32 v6, vcc, v19, v6, vcc
	v_lshlrev_b32_e32 v8, 3, v8
	v_add_co_u32_e32 v5, vcc, v5, v8
	v_addc_co_u32_e32 v6, vcc, 0, v6, vcc
	global_load_dwordx2 v[5:6], v[5:6], off
	s_waitcnt vmcnt(0)
	ds_write_b64 v7, v[5:6] offset:2048
.LBB18_48:
	;; [unrolled: 29-line block ×6, first 2 shown]
	s_or_b64 exec, exec, s[4:5]
	v_or_b32_e32 v19, 0x380, v0
	v_mov_b32_e32 v5, s8
	v_cmp_le_u32_e32 vcc, s23, v19
	s_mov_b64 s[4:5], -1
	v_mov_b32_e32 v6, s9
	v_mov_b32_e32 v7, v19
	s_and_saveexec_b64 s[2:3], vcc
; %bb.65:
	v_subrev_u32_e32 v7, s23, v19
	v_cmp_gt_u32_e32 vcc, s33, v7
	v_mov_b32_e32 v5, s6
	v_mov_b32_e32 v6, s7
	s_orn2_b64 s[4:5], vcc, exec
; %bb.66:
	s_or_b64 exec, exec, s[2:3]
.LBB18_67:
	s_and_saveexec_b64 s[2:3], s[4:5]
	s_cbranch_execz .LBB18_69
; %bb.68:
	v_mov_b32_e32 v8, 0
	v_lshlrev_b64 v[7:8], 3, v[7:8]
	v_add_co_u32_e32 v5, vcc, v5, v7
	v_addc_co_u32_e32 v6, vcc, v6, v8, vcc
	global_load_dwordx2 v[5:6], v[5:6], off
	v_lshlrev_b32_e32 v7, 3, v19
	s_waitcnt vmcnt(0)
	ds_write_b64 v7, v[5:6]
.LBB18_69:
	s_or_b64 exec, exec, s[2:3]
	s_and_b64 vcc, exec, s[0:1]
	v_add_u32_e32 v5, s22, v10
	s_waitcnt lgkmcnt(0)
	s_barrier
	s_cbranch_vccnz .LBB18_71
; %bb.70:
	v_lshlrev_b32_e32 v19, 3, v18
	v_lshlrev_b32_e32 v21, 3, v17
	;; [unrolled: 1-line block ×7, first 2 shown]
	v_mov_b32_e32 v6, 0
	ds_read_b64 v[19:20], v19
	ds_read_b64 v[21:22], v21
	;; [unrolled: 1-line block ×7, first 2 shown]
	v_lshlrev_b64 v[7:8], 3, v[5:6]
	v_mov_b32_e32 v33, s19
	v_add_co_u32_e32 v7, vcc, s18, v7
	v_addc_co_u32_e32 v8, vcc, v33, v8, vcc
	s_mov_b64 s[0:1], -1
	s_waitcnt lgkmcnt(5)
	global_store_dwordx4 v[7:8], v[19:22], off
	s_waitcnt lgkmcnt(3)
	global_store_dwordx4 v[7:8], v[23:26], off offset:16
	s_waitcnt lgkmcnt(1)
	global_store_dwordx4 v[7:8], v[27:30], off offset:32
	s_waitcnt lgkmcnt(0)
	global_store_dwordx2 v[7:8], v[31:32], off offset:48
	s_cbranch_execz .LBB18_72
	s_branch .LBB18_89
.LBB18_71:
	s_mov_b64 s[0:1], 0
.LBB18_72:
	v_cmp_gt_u32_e32 vcc, s21, v10
	s_and_saveexec_b64 s[2:3], vcc
	s_cbranch_execz .LBB18_74
; %bb.73:
	v_lshlrev_b32_e32 v8, 3, v18
	v_mov_b32_e32 v6, 0
	ds_read_b64 v[18:19], v8
	v_lshlrev_b64 v[6:7], 3, v[5:6]
	v_mov_b32_e32 v20, s19
	v_add_co_u32_e32 v6, vcc, s18, v6
	v_addc_co_u32_e32 v7, vcc, v20, v7, vcc
	s_waitcnt lgkmcnt(0)
	global_store_dwordx2 v[6:7], v[18:19], off
.LBB18_74:
	s_or_b64 exec, exec, s[2:3]
	v_or_b32_e32 v6, 1, v10
	v_cmp_gt_u32_e32 vcc, s21, v6
	s_and_saveexec_b64 s[2:3], vcc
	s_cbranch_execz .LBB18_76
; %bb.75:
	v_lshlrev_b32_e32 v8, 3, v17
	v_mov_b32_e32 v6, 0
	ds_read_b64 v[17:18], v8
	v_lshlrev_b64 v[6:7], 3, v[5:6]
	v_mov_b32_e32 v19, s19
	v_add_co_u32_e32 v6, vcc, s18, v6
	v_addc_co_u32_e32 v7, vcc, v19, v7, vcc
	s_waitcnt lgkmcnt(0)
	global_store_dwordx2 v[6:7], v[17:18], off offset:8
.LBB18_76:
	s_or_b64 exec, exec, s[2:3]
	v_or_b32_e32 v6, 2, v10
	v_cmp_gt_u32_e32 vcc, s21, v6
	s_and_saveexec_b64 s[2:3], vcc
	s_cbranch_execz .LBB18_78
; %bb.77:
	v_lshlrev_b32_e32 v8, 3, v16
	v_mov_b32_e32 v6, 0
	ds_read_b64 v[16:17], v8
	v_lshlrev_b64 v[6:7], 3, v[5:6]
	v_mov_b32_e32 v18, s19
	v_add_co_u32_e32 v6, vcc, s18, v6
	v_addc_co_u32_e32 v7, vcc, v18, v7, vcc
	s_waitcnt lgkmcnt(0)
	global_store_dwordx2 v[6:7], v[16:17], off offset:16
.LBB18_78:
	;; [unrolled: 16-line block ×6, first 2 shown]
	s_or_b64 exec, exec, s[2:3]
	v_or_b32_e32 v6, 7, v10
	v_cmp_gt_u32_e32 vcc, s21, v6
	s_and_saveexec_b64 s[2:3], vcc
; %bb.87:
	v_mov_b32_e32 v6, 0
	s_or_b64 s[0:1], s[0:1], exec
; %bb.88:
	s_or_b64 exec, exec, s[2:3]
.LBB18_89:
	s_and_saveexec_b64 s[2:3], s[0:1]
	s_cbranch_execz .LBB18_91
; %bb.90:
	v_lshlrev_b32_e32 v7, 3, v11
	ds_read_b64 v[7:8], v7
	v_lshlrev_b64 v[5:6], 3, v[5:6]
	v_mov_b32_e32 v11, s19
	v_add_co_u32_e32 v5, vcc, s18, v5
	v_addc_co_u32_e32 v6, vcc, v11, v6, vcc
	s_waitcnt lgkmcnt(0)
	global_store_dwordx2 v[5:6], v[7:8], off offset:56
.LBB18_91:
	s_or_b64 exec, exec, s[2:3]
	v_lshrrev_b32_e32 v5, 1, v0
	v_and_b32_e32 v5, 60, v5
	v_lshl_add_u32 v5, v10, 1, v5
	s_waitcnt vmcnt(0)
	s_barrier
	s_barrier
	ds_write2_b32 v5, v1, v2 offset1:1
	ds_write2_b32 v5, v3, v4 offset0:2 offset1:3
	v_lshrrev_b32_e32 v1, 4, v0
	v_and_b32_e32 v1, 4, v1
	v_or_b32_e32 v11, 0x80, v0
	v_add_u32_e32 v12, v1, v9
	v_lshrrev_b32_e32 v1, 4, v11
	v_and_b32_e32 v1, 12, v1
	v_or_b32_e32 v10, 0x100, v0
	v_add_u32_e32 v13, v1, v9
	v_lshrrev_b32_e32 v1, 4, v10
	v_and_b32_e32 v1, 20, v1
	v_or_b32_e32 v8, 0x180, v0
	v_add_u32_e32 v14, v1, v9
	v_lshrrev_b32_e32 v1, 4, v8
	v_and_b32_e32 v1, 28, v1
	v_or_b32_e32 v6, 0x200, v0
	v_add_u32_e32 v15, v1, v9
	v_lshrrev_b32_e32 v1, 4, v6
	v_and_b32_e32 v1, 36, v1
	v_or_b32_e32 v5, 0x280, v0
	v_add_u32_e32 v16, v1, v9
	v_lshrrev_b32_e32 v1, 4, v5
	v_and_b32_e32 v1, 44, v1
	v_or_b32_e32 v4, 0x300, v0
	s_mov_b32 s23, 0
	v_add_u32_e32 v17, v1, v9
	v_lshrrev_b32_e32 v1, 4, v4
	s_lshl_b64 s[0:1], s[22:23], 1
	v_and_b32_e32 v1, 52, v1
	v_or_b32_e32 v3, 0x380, v0
	s_add_u32 s0, s14, s0
	v_add_u32_e32 v18, v1, v9
	v_lshrrev_b32_e32 v1, 4, v3
	s_addc_u32 s1, s15, s1
	v_and_b32_e32 v1, 60, v1
	v_add_u32_e32 v19, v1, v9
	v_mov_b32_e32 v2, s1
	v_add_co_u32_e32 v1, vcc, s0, v9
	v_addc_co_u32_e32 v2, vcc, 0, v2, vcc
	s_and_b64 vcc, exec, s[24:25]
	s_waitcnt lgkmcnt(0)
	s_cbranch_vccz .LBB18_93
; %bb.92:
	s_barrier
	ds_read_u16 v9, v12
	ds_read_u16 v20, v13 offset:256
	ds_read_u16 v21, v14 offset:512
	;; [unrolled: 1-line block ×7, first 2 shown]
	s_waitcnt lgkmcnt(7)
	global_store_short v[1:2], v9, off
	s_waitcnt lgkmcnt(6)
	global_store_short v[1:2], v20, off offset:256
	s_waitcnt lgkmcnt(5)
	global_store_short v[1:2], v21, off offset:512
	;; [unrolled: 2-line block ×6, first 2 shown]
	s_mov_b64 s[0:1], -1
	s_cbranch_execz .LBB18_94
	s_branch .LBB18_103
.LBB18_93:
	s_mov_b64 s[0:1], 0
                                        ; implicit-def: $vgpr7
.LBB18_94:
	s_waitcnt vmcnt(0) lgkmcnt(0)
	s_barrier
	ds_read_u16 v21, v13 offset:256
	ds_read_u16 v20, v14 offset:512
	;; [unrolled: 1-line block ×7, first 2 shown]
	s_sub_i32 s2, s20, s22
	v_cmp_gt_u32_e32 vcc, s2, v0
	s_and_saveexec_b64 s[0:1], vcc
	s_cbranch_execnz .LBB18_106
; %bb.95:
	s_or_b64 exec, exec, s[0:1]
	v_cmp_gt_u32_e32 vcc, s2, v11
	s_and_saveexec_b64 s[0:1], vcc
	s_cbranch_execnz .LBB18_107
.LBB18_96:
	s_or_b64 exec, exec, s[0:1]
	v_cmp_gt_u32_e32 vcc, s2, v10
	s_and_saveexec_b64 s[0:1], vcc
	s_cbranch_execnz .LBB18_108
.LBB18_97:
	s_or_b64 exec, exec, s[0:1]
	v_cmp_gt_u32_e32 vcc, s2, v8
	s_and_saveexec_b64 s[0:1], vcc
	s_cbranch_execnz .LBB18_109
.LBB18_98:
	s_or_b64 exec, exec, s[0:1]
	v_cmp_gt_u32_e32 vcc, s2, v6
	s_and_saveexec_b64 s[0:1], vcc
	s_cbranch_execnz .LBB18_110
.LBB18_99:
	s_or_b64 exec, exec, s[0:1]
	v_cmp_gt_u32_e32 vcc, s2, v5
	s_and_saveexec_b64 s[0:1], vcc
	s_cbranch_execnz .LBB18_111
.LBB18_100:
	s_or_b64 exec, exec, s[0:1]
	v_cmp_gt_u32_e32 vcc, s2, v4
	s_and_saveexec_b64 s[0:1], vcc
	s_cbranch_execz .LBB18_102
.LBB18_101:
	s_waitcnt lgkmcnt(1)
	global_store_short v[1:2], v9, off offset:1536
.LBB18_102:
	s_or_b64 exec, exec, s[0:1]
	v_cmp_gt_u32_e64 s[0:1], s2, v3
.LBB18_103:
	s_and_saveexec_b64 s[2:3], s[0:1]
	s_cbranch_execz .LBB18_105
; %bb.104:
	s_waitcnt lgkmcnt(0)
	global_store_short v[1:2], v7, off offset:1792
.LBB18_105:
	s_endpgm
.LBB18_106:
	ds_read_u16 v0, v12
	s_waitcnt lgkmcnt(0)
	global_store_short v[1:2], v0, off
	s_or_b64 exec, exec, s[0:1]
	v_cmp_gt_u32_e32 vcc, s2, v11
	s_and_saveexec_b64 s[0:1], vcc
	s_cbranch_execz .LBB18_96
.LBB18_107:
	s_waitcnt lgkmcnt(6)
	global_store_short v[1:2], v21, off offset:256
	s_or_b64 exec, exec, s[0:1]
	v_cmp_gt_u32_e32 vcc, s2, v10
	s_and_saveexec_b64 s[0:1], vcc
	s_cbranch_execz .LBB18_97
.LBB18_108:
	s_waitcnt lgkmcnt(5)
	global_store_short v[1:2], v20, off offset:512
	s_or_b64 exec, exec, s[0:1]
	v_cmp_gt_u32_e32 vcc, s2, v8
	s_and_saveexec_b64 s[0:1], vcc
	s_cbranch_execz .LBB18_98
.LBB18_109:
	s_waitcnt lgkmcnt(4)
	global_store_short v[1:2], v15, off offset:768
	s_or_b64 exec, exec, s[0:1]
	v_cmp_gt_u32_e32 vcc, s2, v6
	s_and_saveexec_b64 s[0:1], vcc
	s_cbranch_execz .LBB18_99
.LBB18_110:
	s_waitcnt lgkmcnt(3)
	global_store_short v[1:2], v14, off offset:1024
	s_or_b64 exec, exec, s[0:1]
	v_cmp_gt_u32_e32 vcc, s2, v5
	s_and_saveexec_b64 s[0:1], vcc
	s_cbranch_execz .LBB18_100
.LBB18_111:
	s_waitcnt lgkmcnt(2)
	global_store_short v[1:2], v13, off offset:1280
	s_or_b64 exec, exec, s[0:1]
	v_cmp_gt_u32_e32 vcc, s2, v4
	s_and_saveexec_b64 s[0:1], vcc
	s_cbranch_execnz .LBB18_101
	s_branch .LBB18_102
	.section	.rodata,"a",@progbits
	.p2align	6, 0x0
	.amdhsa_kernel _ZN7rocprim17ROCPRIM_304000_NS6detail35device_block_merge_mergepath_kernelINS1_37wrapped_merge_sort_block_merge_configINS0_14default_configEtN2at4cuda3cub6detail10OpaqueTypeILi8EEEEEPtSC_PSA_SD_jNS1_19radix_merge_compareILb0ELb0EtNS0_19identity_decomposerEEEEEvT0_T1_T2_T3_T4_SL_jT5_PKSL_NS1_7vsmem_tE
		.amdhsa_group_segment_fixed_size 8208
		.amdhsa_private_segment_fixed_size 0
		.amdhsa_kernarg_size 320
		.amdhsa_user_sgpr_count 6
		.amdhsa_user_sgpr_private_segment_buffer 1
		.amdhsa_user_sgpr_dispatch_ptr 0
		.amdhsa_user_sgpr_queue_ptr 0
		.amdhsa_user_sgpr_kernarg_segment_ptr 1
		.amdhsa_user_sgpr_dispatch_id 0
		.amdhsa_user_sgpr_flat_scratch_init 0
		.amdhsa_user_sgpr_private_segment_size 0
		.amdhsa_uses_dynamic_stack 0
		.amdhsa_system_sgpr_private_segment_wavefront_offset 0
		.amdhsa_system_sgpr_workgroup_id_x 1
		.amdhsa_system_sgpr_workgroup_id_y 1
		.amdhsa_system_sgpr_workgroup_id_z 1
		.amdhsa_system_sgpr_workgroup_info 0
		.amdhsa_system_vgpr_workitem_id 0
		.amdhsa_next_free_vgpr 49
		.amdhsa_next_free_sgpr 98
		.amdhsa_reserve_vcc 1
		.amdhsa_reserve_flat_scratch 0
		.amdhsa_float_round_mode_32 0
		.amdhsa_float_round_mode_16_64 0
		.amdhsa_float_denorm_mode_32 3
		.amdhsa_float_denorm_mode_16_64 3
		.amdhsa_dx10_clamp 1
		.amdhsa_ieee_mode 1
		.amdhsa_fp16_overflow 0
		.amdhsa_exception_fp_ieee_invalid_op 0
		.amdhsa_exception_fp_denorm_src 0
		.amdhsa_exception_fp_ieee_div_zero 0
		.amdhsa_exception_fp_ieee_overflow 0
		.amdhsa_exception_fp_ieee_underflow 0
		.amdhsa_exception_fp_ieee_inexact 0
		.amdhsa_exception_int_div_zero 0
	.end_amdhsa_kernel
	.section	.text._ZN7rocprim17ROCPRIM_304000_NS6detail35device_block_merge_mergepath_kernelINS1_37wrapped_merge_sort_block_merge_configINS0_14default_configEtN2at4cuda3cub6detail10OpaqueTypeILi8EEEEEPtSC_PSA_SD_jNS1_19radix_merge_compareILb0ELb0EtNS0_19identity_decomposerEEEEEvT0_T1_T2_T3_T4_SL_jT5_PKSL_NS1_7vsmem_tE,"axG",@progbits,_ZN7rocprim17ROCPRIM_304000_NS6detail35device_block_merge_mergepath_kernelINS1_37wrapped_merge_sort_block_merge_configINS0_14default_configEtN2at4cuda3cub6detail10OpaqueTypeILi8EEEEEPtSC_PSA_SD_jNS1_19radix_merge_compareILb0ELb0EtNS0_19identity_decomposerEEEEEvT0_T1_T2_T3_T4_SL_jT5_PKSL_NS1_7vsmem_tE,comdat
.Lfunc_end18:
	.size	_ZN7rocprim17ROCPRIM_304000_NS6detail35device_block_merge_mergepath_kernelINS1_37wrapped_merge_sort_block_merge_configINS0_14default_configEtN2at4cuda3cub6detail10OpaqueTypeILi8EEEEEPtSC_PSA_SD_jNS1_19radix_merge_compareILb0ELb0EtNS0_19identity_decomposerEEEEEvT0_T1_T2_T3_T4_SL_jT5_PKSL_NS1_7vsmem_tE, .Lfunc_end18-_ZN7rocprim17ROCPRIM_304000_NS6detail35device_block_merge_mergepath_kernelINS1_37wrapped_merge_sort_block_merge_configINS0_14default_configEtN2at4cuda3cub6detail10OpaqueTypeILi8EEEEEPtSC_PSA_SD_jNS1_19radix_merge_compareILb0ELb0EtNS0_19identity_decomposerEEEEEvT0_T1_T2_T3_T4_SL_jT5_PKSL_NS1_7vsmem_tE
                                        ; -- End function
	.set _ZN7rocprim17ROCPRIM_304000_NS6detail35device_block_merge_mergepath_kernelINS1_37wrapped_merge_sort_block_merge_configINS0_14default_configEtN2at4cuda3cub6detail10OpaqueTypeILi8EEEEEPtSC_PSA_SD_jNS1_19radix_merge_compareILb0ELb0EtNS0_19identity_decomposerEEEEEvT0_T1_T2_T3_T4_SL_jT5_PKSL_NS1_7vsmem_tE.num_vgpr, 34
	.set _ZN7rocprim17ROCPRIM_304000_NS6detail35device_block_merge_mergepath_kernelINS1_37wrapped_merge_sort_block_merge_configINS0_14default_configEtN2at4cuda3cub6detail10OpaqueTypeILi8EEEEEPtSC_PSA_SD_jNS1_19radix_merge_compareILb0ELb0EtNS0_19identity_decomposerEEEEEvT0_T1_T2_T3_T4_SL_jT5_PKSL_NS1_7vsmem_tE.num_agpr, 0
	.set _ZN7rocprim17ROCPRIM_304000_NS6detail35device_block_merge_mergepath_kernelINS1_37wrapped_merge_sort_block_merge_configINS0_14default_configEtN2at4cuda3cub6detail10OpaqueTypeILi8EEEEEPtSC_PSA_SD_jNS1_19radix_merge_compareILb0ELb0EtNS0_19identity_decomposerEEEEEvT0_T1_T2_T3_T4_SL_jT5_PKSL_NS1_7vsmem_tE.numbered_sgpr, 34
	.set _ZN7rocprim17ROCPRIM_304000_NS6detail35device_block_merge_mergepath_kernelINS1_37wrapped_merge_sort_block_merge_configINS0_14default_configEtN2at4cuda3cub6detail10OpaqueTypeILi8EEEEEPtSC_PSA_SD_jNS1_19radix_merge_compareILb0ELb0EtNS0_19identity_decomposerEEEEEvT0_T1_T2_T3_T4_SL_jT5_PKSL_NS1_7vsmem_tE.num_named_barrier, 0
	.set _ZN7rocprim17ROCPRIM_304000_NS6detail35device_block_merge_mergepath_kernelINS1_37wrapped_merge_sort_block_merge_configINS0_14default_configEtN2at4cuda3cub6detail10OpaqueTypeILi8EEEEEPtSC_PSA_SD_jNS1_19radix_merge_compareILb0ELb0EtNS0_19identity_decomposerEEEEEvT0_T1_T2_T3_T4_SL_jT5_PKSL_NS1_7vsmem_tE.private_seg_size, 0
	.set _ZN7rocprim17ROCPRIM_304000_NS6detail35device_block_merge_mergepath_kernelINS1_37wrapped_merge_sort_block_merge_configINS0_14default_configEtN2at4cuda3cub6detail10OpaqueTypeILi8EEEEEPtSC_PSA_SD_jNS1_19radix_merge_compareILb0ELb0EtNS0_19identity_decomposerEEEEEvT0_T1_T2_T3_T4_SL_jT5_PKSL_NS1_7vsmem_tE.uses_vcc, 1
	.set _ZN7rocprim17ROCPRIM_304000_NS6detail35device_block_merge_mergepath_kernelINS1_37wrapped_merge_sort_block_merge_configINS0_14default_configEtN2at4cuda3cub6detail10OpaqueTypeILi8EEEEEPtSC_PSA_SD_jNS1_19radix_merge_compareILb0ELb0EtNS0_19identity_decomposerEEEEEvT0_T1_T2_T3_T4_SL_jT5_PKSL_NS1_7vsmem_tE.uses_flat_scratch, 0
	.set _ZN7rocprim17ROCPRIM_304000_NS6detail35device_block_merge_mergepath_kernelINS1_37wrapped_merge_sort_block_merge_configINS0_14default_configEtN2at4cuda3cub6detail10OpaqueTypeILi8EEEEEPtSC_PSA_SD_jNS1_19radix_merge_compareILb0ELb0EtNS0_19identity_decomposerEEEEEvT0_T1_T2_T3_T4_SL_jT5_PKSL_NS1_7vsmem_tE.has_dyn_sized_stack, 0
	.set _ZN7rocprim17ROCPRIM_304000_NS6detail35device_block_merge_mergepath_kernelINS1_37wrapped_merge_sort_block_merge_configINS0_14default_configEtN2at4cuda3cub6detail10OpaqueTypeILi8EEEEEPtSC_PSA_SD_jNS1_19radix_merge_compareILb0ELb0EtNS0_19identity_decomposerEEEEEvT0_T1_T2_T3_T4_SL_jT5_PKSL_NS1_7vsmem_tE.has_recursion, 0
	.set _ZN7rocprim17ROCPRIM_304000_NS6detail35device_block_merge_mergepath_kernelINS1_37wrapped_merge_sort_block_merge_configINS0_14default_configEtN2at4cuda3cub6detail10OpaqueTypeILi8EEEEEPtSC_PSA_SD_jNS1_19radix_merge_compareILb0ELb0EtNS0_19identity_decomposerEEEEEvT0_T1_T2_T3_T4_SL_jT5_PKSL_NS1_7vsmem_tE.has_indirect_call, 0
	.section	.AMDGPU.csdata,"",@progbits
; Kernel info:
; codeLenInByte = 6092
; TotalNumSgprs: 38
; NumVgprs: 34
; ScratchSize: 0
; MemoryBound: 0
; FloatMode: 240
; IeeeMode: 1
; LDSByteSize: 8208 bytes/workgroup (compile time only)
; SGPRBlocks: 12
; VGPRBlocks: 12
; NumSGPRsForWavesPerEU: 102
; NumVGPRsForWavesPerEU: 49
; Occupancy: 4
; WaveLimiterHint : 1
; COMPUTE_PGM_RSRC2:SCRATCH_EN: 0
; COMPUTE_PGM_RSRC2:USER_SGPR: 6
; COMPUTE_PGM_RSRC2:TRAP_HANDLER: 0
; COMPUTE_PGM_RSRC2:TGID_X_EN: 1
; COMPUTE_PGM_RSRC2:TGID_Y_EN: 1
; COMPUTE_PGM_RSRC2:TGID_Z_EN: 1
; COMPUTE_PGM_RSRC2:TIDIG_COMP_CNT: 0
	.section	.text._ZN7rocprim17ROCPRIM_304000_NS6detail33device_block_merge_oddeven_kernelINS1_37wrapped_merge_sort_block_merge_configINS0_14default_configEtN2at4cuda3cub6detail10OpaqueTypeILi8EEEEEPtSC_PSA_SD_jNS1_19radix_merge_compareILb0ELb0EtNS0_19identity_decomposerEEEEEvT0_T1_T2_T3_T4_SL_T5_,"axG",@progbits,_ZN7rocprim17ROCPRIM_304000_NS6detail33device_block_merge_oddeven_kernelINS1_37wrapped_merge_sort_block_merge_configINS0_14default_configEtN2at4cuda3cub6detail10OpaqueTypeILi8EEEEEPtSC_PSA_SD_jNS1_19radix_merge_compareILb0ELb0EtNS0_19identity_decomposerEEEEEvT0_T1_T2_T3_T4_SL_T5_,comdat
	.protected	_ZN7rocprim17ROCPRIM_304000_NS6detail33device_block_merge_oddeven_kernelINS1_37wrapped_merge_sort_block_merge_configINS0_14default_configEtN2at4cuda3cub6detail10OpaqueTypeILi8EEEEEPtSC_PSA_SD_jNS1_19radix_merge_compareILb0ELb0EtNS0_19identity_decomposerEEEEEvT0_T1_T2_T3_T4_SL_T5_ ; -- Begin function _ZN7rocprim17ROCPRIM_304000_NS6detail33device_block_merge_oddeven_kernelINS1_37wrapped_merge_sort_block_merge_configINS0_14default_configEtN2at4cuda3cub6detail10OpaqueTypeILi8EEEEEPtSC_PSA_SD_jNS1_19radix_merge_compareILb0ELb0EtNS0_19identity_decomposerEEEEEvT0_T1_T2_T3_T4_SL_T5_
	.globl	_ZN7rocprim17ROCPRIM_304000_NS6detail33device_block_merge_oddeven_kernelINS1_37wrapped_merge_sort_block_merge_configINS0_14default_configEtN2at4cuda3cub6detail10OpaqueTypeILi8EEEEEPtSC_PSA_SD_jNS1_19radix_merge_compareILb0ELb0EtNS0_19identity_decomposerEEEEEvT0_T1_T2_T3_T4_SL_T5_
	.p2align	8
	.type	_ZN7rocprim17ROCPRIM_304000_NS6detail33device_block_merge_oddeven_kernelINS1_37wrapped_merge_sort_block_merge_configINS0_14default_configEtN2at4cuda3cub6detail10OpaqueTypeILi8EEEEEPtSC_PSA_SD_jNS1_19radix_merge_compareILb0ELb0EtNS0_19identity_decomposerEEEEEvT0_T1_T2_T3_T4_SL_T5_,@function
_ZN7rocprim17ROCPRIM_304000_NS6detail33device_block_merge_oddeven_kernelINS1_37wrapped_merge_sort_block_merge_configINS0_14default_configEtN2at4cuda3cub6detail10OpaqueTypeILi8EEEEEPtSC_PSA_SD_jNS1_19radix_merge_compareILb0ELb0EtNS0_19identity_decomposerEEEEEvT0_T1_T2_T3_T4_SL_T5_: ; @_ZN7rocprim17ROCPRIM_304000_NS6detail33device_block_merge_oddeven_kernelINS1_37wrapped_merge_sort_block_merge_configINS0_14default_configEtN2at4cuda3cub6detail10OpaqueTypeILi8EEEEEPtSC_PSA_SD_jNS1_19radix_merge_compareILb0ELb0EtNS0_19identity_decomposerEEEEEvT0_T1_T2_T3_T4_SL_T5_
; %bb.0:
	s_load_dwordx2 s[18:19], s[4:5], 0x20
	s_waitcnt lgkmcnt(0)
	s_lshr_b32 s0, s18, 8
	s_cmp_eq_u32 s6, s0
	s_cselect_b64 s[16:17], -1, 0
	s_cmp_lg_u32 s6, s0
	s_cselect_b64 s[0:1], -1, 0
	s_lshl_b32 s20, s6, 8
	s_sub_i32 s2, s18, s20
	v_cmp_gt_u32_e64 s[2:3], s2, v0
	s_or_b64 s[0:1], s[0:1], s[2:3]
	s_and_saveexec_b64 s[8:9], s[0:1]
	s_cbranch_execz .LBB19_24
; %bb.1:
	s_load_dwordx8 s[8:15], s[4:5], 0x0
	s_mov_b32 s21, 0
	s_lshl_b64 s[0:1], s[20:21], 1
	v_lshlrev_b32_e32 v4, 3, v0
	v_lshlrev_b32_e32 v3, 1, v0
	s_waitcnt lgkmcnt(0)
	s_add_u32 s0, s8, s0
	s_addc_u32 s1, s9, s1
	s_lshl_b64 s[4:5], s[20:21], 3
	s_add_u32 s4, s12, s4
	s_addc_u32 s5, s13, s5
	global_load_dwordx2 v[1:2], v4, s[4:5]
	global_load_ushort v5, v3, s[0:1]
	s_lshr_b32 s0, s19, 8
	s_sub_i32 s1, 0, s0
	s_and_b32 s1, s6, s1
	s_and_b32 s0, s1, s0
	s_lshl_b32 s13, s1, 8
	s_sub_i32 s6, 0, s19
	s_cmp_eq_u32 s0, 0
	s_cselect_b64 s[0:1], -1, 0
	s_and_b64 s[4:5], s[0:1], exec
	s_cselect_b32 s6, s19, s6
	s_add_i32 s6, s6, s13
	s_mov_b64 s[4:5], -1
	s_cmp_gt_u32 s18, s6
	v_add_u32_e32 v3, s20, v0
	s_cbranch_scc1 .LBB19_9
; %bb.2:
	s_and_b64 vcc, exec, s[16:17]
	s_cbranch_vccz .LBB19_6
; %bb.3:
	v_cmp_gt_u32_e32 vcc, s18, v3
	s_and_saveexec_b64 s[4:5], vcc
	s_cbranch_execz .LBB19_5
; %bb.4:
	v_mov_b32_e32 v4, 0
	v_lshlrev_b64 v[6:7], 3, v[3:4]
	v_mov_b32_e32 v0, s15
	v_add_co_u32_e32 v6, vcc, s14, v6
	v_lshlrev_b64 v[8:9], 1, v[3:4]
	v_addc_co_u32_e32 v7, vcc, v0, v7, vcc
	v_mov_b32_e32 v0, s11
	v_add_co_u32_e32 v8, vcc, s10, v8
	v_addc_co_u32_e32 v9, vcc, v0, v9, vcc
	s_waitcnt vmcnt(0)
	global_store_short v[8:9], v5, off
	global_store_dwordx2 v[6:7], v[1:2], off
.LBB19_5:
	s_or_b64 exec, exec, s[4:5]
	s_mov_b64 s[4:5], 0
.LBB19_6:
	s_andn2_b64 vcc, exec, s[4:5]
	s_cbranch_vccnz .LBB19_8
; %bb.7:
	v_mov_b32_e32 v4, 0
	v_lshlrev_b64 v[6:7], 1, v[3:4]
	v_mov_b32_e32 v0, s11
	v_add_co_u32_e32 v6, vcc, s10, v6
	v_lshlrev_b64 v[8:9], 3, v[3:4]
	v_addc_co_u32_e32 v7, vcc, v0, v7, vcc
	v_mov_b32_e32 v0, s15
	v_add_co_u32_e32 v8, vcc, s14, v8
	v_addc_co_u32_e32 v9, vcc, v0, v9, vcc
	s_waitcnt vmcnt(0)
	global_store_short v[6:7], v5, off
	global_store_dwordx2 v[8:9], v[1:2], off
.LBB19_8:
	s_mov_b64 s[4:5], 0
.LBB19_9:
	s_andn2_b64 vcc, exec, s[4:5]
	s_cbranch_vccnz .LBB19_24
; %bb.10:
	s_min_u32 s7, s6, s18
	s_add_i32 s4, s7, s19
	s_min_u32 s12, s4, s18
	s_min_u32 s4, s13, s7
	s_add_i32 s13, s13, s7
	v_subrev_u32_e32 v0, s13, v3
	v_add_u32_e32 v0, s4, v0
	s_andn2_b64 vcc, exec, s[16:17]
	s_mov_b64 s[4:5], -1
	s_cbranch_vccnz .LBB19_18
; %bb.11:
	s_and_saveexec_b64 s[4:5], s[2:3]
	s_cbranch_execz .LBB19_17
; %bb.12:
	s_cmp_ge_u32 s6, s12
	v_mov_b32_e32 v3, s7
	s_cbranch_scc1 .LBB19_16
; %bb.13:
	s_mov_b64 s[2:3], 0
	v_mov_b32_e32 v4, s12
	v_mov_b32_e32 v3, s7
.LBB19_14:                              ; =>This Inner Loop Header: Depth=1
	v_add_u32_e32 v6, v3, v4
	v_and_b32_e32 v7, -2, v6
	global_load_ushort v7, v7, s[8:9]
	v_lshrrev_b32_e32 v6, 1, v6
	v_add_u32_e32 v8, 1, v6
	s_waitcnt vmcnt(0)
	v_cmp_gt_u16_e32 vcc, v5, v7
	v_cndmask_b32_e64 v9, 0, 1, vcc
	v_cmp_le_u16_e32 vcc, v7, v5
	v_cndmask_b32_e64 v7, 0, 1, vcc
	v_cndmask_b32_e64 v7, v7, v9, s[0:1]
	v_and_b32_e32 v7, 1, v7
	v_cmp_eq_u32_e32 vcc, 1, v7
	v_cndmask_b32_e32 v4, v6, v4, vcc
	v_cndmask_b32_e32 v3, v3, v8, vcc
	v_cmp_ge_u32_e32 vcc, v3, v4
	s_or_b64 s[2:3], vcc, s[2:3]
	s_andn2_b64 exec, exec, s[2:3]
	s_cbranch_execnz .LBB19_14
; %bb.15:
	s_or_b64 exec, exec, s[2:3]
.LBB19_16:
	v_add_u32_e32 v3, v3, v0
	v_mov_b32_e32 v4, 0
	v_lshlrev_b64 v[6:7], 1, v[3:4]
	v_mov_b32_e32 v8, s11
	v_add_co_u32_e32 v6, vcc, s10, v6
	v_lshlrev_b64 v[3:4], 3, v[3:4]
	v_addc_co_u32_e32 v7, vcc, v8, v7, vcc
	s_waitcnt vmcnt(0)
	global_store_short v[6:7], v5, off
	v_mov_b32_e32 v6, s15
	v_add_co_u32_e32 v3, vcc, s14, v3
	v_addc_co_u32_e32 v4, vcc, v6, v4, vcc
	global_store_dwordx2 v[3:4], v[1:2], off
.LBB19_17:
	s_or_b64 exec, exec, s[4:5]
	s_mov_b64 s[4:5], 0
.LBB19_18:
	s_andn2_b64 vcc, exec, s[4:5]
	s_cbranch_vccnz .LBB19_24
; %bb.19:
	s_cmp_ge_u32 s6, s12
	v_mov_b32_e32 v3, s7
	s_cbranch_scc1 .LBB19_23
; %bb.20:
	s_mov_b64 s[2:3], 0
	v_mov_b32_e32 v4, s12
	v_mov_b32_e32 v3, s7
.LBB19_21:                              ; =>This Inner Loop Header: Depth=1
	v_add_u32_e32 v6, v3, v4
	v_and_b32_e32 v7, -2, v6
	global_load_ushort v7, v7, s[8:9]
	v_lshrrev_b32_e32 v6, 1, v6
	v_add_u32_e32 v8, 1, v6
	s_waitcnt vmcnt(0)
	v_cmp_gt_u16_e32 vcc, v5, v7
	v_cndmask_b32_e64 v9, 0, 1, vcc
	v_cmp_le_u16_e32 vcc, v7, v5
	v_cndmask_b32_e64 v7, 0, 1, vcc
	v_cndmask_b32_e64 v7, v7, v9, s[0:1]
	v_and_b32_e32 v7, 1, v7
	v_cmp_eq_u32_e32 vcc, 1, v7
	v_cndmask_b32_e32 v4, v6, v4, vcc
	v_cndmask_b32_e32 v3, v3, v8, vcc
	v_cmp_ge_u32_e32 vcc, v3, v4
	s_or_b64 s[2:3], vcc, s[2:3]
	s_andn2_b64 exec, exec, s[2:3]
	s_cbranch_execnz .LBB19_21
; %bb.22:
	s_or_b64 exec, exec, s[2:3]
.LBB19_23:
	v_add_u32_e32 v3, v3, v0
	v_mov_b32_e32 v4, 0
	v_lshlrev_b64 v[6:7], 1, v[3:4]
	v_mov_b32_e32 v0, s11
	v_add_co_u32_e32 v6, vcc, s10, v6
	v_lshlrev_b64 v[3:4], 3, v[3:4]
	v_addc_co_u32_e32 v7, vcc, v0, v7, vcc
	v_mov_b32_e32 v0, s15
	v_add_co_u32_e32 v3, vcc, s14, v3
	v_addc_co_u32_e32 v4, vcc, v0, v4, vcc
	s_waitcnt vmcnt(0)
	global_store_short v[6:7], v5, off
	global_store_dwordx2 v[3:4], v[1:2], off
.LBB19_24:
	s_endpgm
	.section	.rodata,"a",@progbits
	.p2align	6, 0x0
	.amdhsa_kernel _ZN7rocprim17ROCPRIM_304000_NS6detail33device_block_merge_oddeven_kernelINS1_37wrapped_merge_sort_block_merge_configINS0_14default_configEtN2at4cuda3cub6detail10OpaqueTypeILi8EEEEEPtSC_PSA_SD_jNS1_19radix_merge_compareILb0ELb0EtNS0_19identity_decomposerEEEEEvT0_T1_T2_T3_T4_SL_T5_
		.amdhsa_group_segment_fixed_size 0
		.amdhsa_private_segment_fixed_size 0
		.amdhsa_kernarg_size 44
		.amdhsa_user_sgpr_count 6
		.amdhsa_user_sgpr_private_segment_buffer 1
		.amdhsa_user_sgpr_dispatch_ptr 0
		.amdhsa_user_sgpr_queue_ptr 0
		.amdhsa_user_sgpr_kernarg_segment_ptr 1
		.amdhsa_user_sgpr_dispatch_id 0
		.amdhsa_user_sgpr_flat_scratch_init 0
		.amdhsa_user_sgpr_private_segment_size 0
		.amdhsa_uses_dynamic_stack 0
		.amdhsa_system_sgpr_private_segment_wavefront_offset 0
		.amdhsa_system_sgpr_workgroup_id_x 1
		.amdhsa_system_sgpr_workgroup_id_y 0
		.amdhsa_system_sgpr_workgroup_id_z 0
		.amdhsa_system_sgpr_workgroup_info 0
		.amdhsa_system_vgpr_workitem_id 0
		.amdhsa_next_free_vgpr 10
		.amdhsa_next_free_sgpr 22
		.amdhsa_reserve_vcc 1
		.amdhsa_reserve_flat_scratch 0
		.amdhsa_float_round_mode_32 0
		.amdhsa_float_round_mode_16_64 0
		.amdhsa_float_denorm_mode_32 3
		.amdhsa_float_denorm_mode_16_64 3
		.amdhsa_dx10_clamp 1
		.amdhsa_ieee_mode 1
		.amdhsa_fp16_overflow 0
		.amdhsa_exception_fp_ieee_invalid_op 0
		.amdhsa_exception_fp_denorm_src 0
		.amdhsa_exception_fp_ieee_div_zero 0
		.amdhsa_exception_fp_ieee_overflow 0
		.amdhsa_exception_fp_ieee_underflow 0
		.amdhsa_exception_fp_ieee_inexact 0
		.amdhsa_exception_int_div_zero 0
	.end_amdhsa_kernel
	.section	.text._ZN7rocprim17ROCPRIM_304000_NS6detail33device_block_merge_oddeven_kernelINS1_37wrapped_merge_sort_block_merge_configINS0_14default_configEtN2at4cuda3cub6detail10OpaqueTypeILi8EEEEEPtSC_PSA_SD_jNS1_19radix_merge_compareILb0ELb0EtNS0_19identity_decomposerEEEEEvT0_T1_T2_T3_T4_SL_T5_,"axG",@progbits,_ZN7rocprim17ROCPRIM_304000_NS6detail33device_block_merge_oddeven_kernelINS1_37wrapped_merge_sort_block_merge_configINS0_14default_configEtN2at4cuda3cub6detail10OpaqueTypeILi8EEEEEPtSC_PSA_SD_jNS1_19radix_merge_compareILb0ELb0EtNS0_19identity_decomposerEEEEEvT0_T1_T2_T3_T4_SL_T5_,comdat
.Lfunc_end19:
	.size	_ZN7rocprim17ROCPRIM_304000_NS6detail33device_block_merge_oddeven_kernelINS1_37wrapped_merge_sort_block_merge_configINS0_14default_configEtN2at4cuda3cub6detail10OpaqueTypeILi8EEEEEPtSC_PSA_SD_jNS1_19radix_merge_compareILb0ELb0EtNS0_19identity_decomposerEEEEEvT0_T1_T2_T3_T4_SL_T5_, .Lfunc_end19-_ZN7rocprim17ROCPRIM_304000_NS6detail33device_block_merge_oddeven_kernelINS1_37wrapped_merge_sort_block_merge_configINS0_14default_configEtN2at4cuda3cub6detail10OpaqueTypeILi8EEEEEPtSC_PSA_SD_jNS1_19radix_merge_compareILb0ELb0EtNS0_19identity_decomposerEEEEEvT0_T1_T2_T3_T4_SL_T5_
                                        ; -- End function
	.set _ZN7rocprim17ROCPRIM_304000_NS6detail33device_block_merge_oddeven_kernelINS1_37wrapped_merge_sort_block_merge_configINS0_14default_configEtN2at4cuda3cub6detail10OpaqueTypeILi8EEEEEPtSC_PSA_SD_jNS1_19radix_merge_compareILb0ELb0EtNS0_19identity_decomposerEEEEEvT0_T1_T2_T3_T4_SL_T5_.num_vgpr, 10
	.set _ZN7rocprim17ROCPRIM_304000_NS6detail33device_block_merge_oddeven_kernelINS1_37wrapped_merge_sort_block_merge_configINS0_14default_configEtN2at4cuda3cub6detail10OpaqueTypeILi8EEEEEPtSC_PSA_SD_jNS1_19radix_merge_compareILb0ELb0EtNS0_19identity_decomposerEEEEEvT0_T1_T2_T3_T4_SL_T5_.num_agpr, 0
	.set _ZN7rocprim17ROCPRIM_304000_NS6detail33device_block_merge_oddeven_kernelINS1_37wrapped_merge_sort_block_merge_configINS0_14default_configEtN2at4cuda3cub6detail10OpaqueTypeILi8EEEEEPtSC_PSA_SD_jNS1_19radix_merge_compareILb0ELb0EtNS0_19identity_decomposerEEEEEvT0_T1_T2_T3_T4_SL_T5_.numbered_sgpr, 22
	.set _ZN7rocprim17ROCPRIM_304000_NS6detail33device_block_merge_oddeven_kernelINS1_37wrapped_merge_sort_block_merge_configINS0_14default_configEtN2at4cuda3cub6detail10OpaqueTypeILi8EEEEEPtSC_PSA_SD_jNS1_19radix_merge_compareILb0ELb0EtNS0_19identity_decomposerEEEEEvT0_T1_T2_T3_T4_SL_T5_.num_named_barrier, 0
	.set _ZN7rocprim17ROCPRIM_304000_NS6detail33device_block_merge_oddeven_kernelINS1_37wrapped_merge_sort_block_merge_configINS0_14default_configEtN2at4cuda3cub6detail10OpaqueTypeILi8EEEEEPtSC_PSA_SD_jNS1_19radix_merge_compareILb0ELb0EtNS0_19identity_decomposerEEEEEvT0_T1_T2_T3_T4_SL_T5_.private_seg_size, 0
	.set _ZN7rocprim17ROCPRIM_304000_NS6detail33device_block_merge_oddeven_kernelINS1_37wrapped_merge_sort_block_merge_configINS0_14default_configEtN2at4cuda3cub6detail10OpaqueTypeILi8EEEEEPtSC_PSA_SD_jNS1_19radix_merge_compareILb0ELb0EtNS0_19identity_decomposerEEEEEvT0_T1_T2_T3_T4_SL_T5_.uses_vcc, 1
	.set _ZN7rocprim17ROCPRIM_304000_NS6detail33device_block_merge_oddeven_kernelINS1_37wrapped_merge_sort_block_merge_configINS0_14default_configEtN2at4cuda3cub6detail10OpaqueTypeILi8EEEEEPtSC_PSA_SD_jNS1_19radix_merge_compareILb0ELb0EtNS0_19identity_decomposerEEEEEvT0_T1_T2_T3_T4_SL_T5_.uses_flat_scratch, 0
	.set _ZN7rocprim17ROCPRIM_304000_NS6detail33device_block_merge_oddeven_kernelINS1_37wrapped_merge_sort_block_merge_configINS0_14default_configEtN2at4cuda3cub6detail10OpaqueTypeILi8EEEEEPtSC_PSA_SD_jNS1_19radix_merge_compareILb0ELb0EtNS0_19identity_decomposerEEEEEvT0_T1_T2_T3_T4_SL_T5_.has_dyn_sized_stack, 0
	.set _ZN7rocprim17ROCPRIM_304000_NS6detail33device_block_merge_oddeven_kernelINS1_37wrapped_merge_sort_block_merge_configINS0_14default_configEtN2at4cuda3cub6detail10OpaqueTypeILi8EEEEEPtSC_PSA_SD_jNS1_19radix_merge_compareILb0ELb0EtNS0_19identity_decomposerEEEEEvT0_T1_T2_T3_T4_SL_T5_.has_recursion, 0
	.set _ZN7rocprim17ROCPRIM_304000_NS6detail33device_block_merge_oddeven_kernelINS1_37wrapped_merge_sort_block_merge_configINS0_14default_configEtN2at4cuda3cub6detail10OpaqueTypeILi8EEEEEPtSC_PSA_SD_jNS1_19radix_merge_compareILb0ELb0EtNS0_19identity_decomposerEEEEEvT0_T1_T2_T3_T4_SL_T5_.has_indirect_call, 0
	.section	.AMDGPU.csdata,"",@progbits
; Kernel info:
; codeLenInByte = 804
; TotalNumSgprs: 26
; NumVgprs: 10
; ScratchSize: 0
; MemoryBound: 0
; FloatMode: 240
; IeeeMode: 1
; LDSByteSize: 0 bytes/workgroup (compile time only)
; SGPRBlocks: 3
; VGPRBlocks: 2
; NumSGPRsForWavesPerEU: 26
; NumVGPRsForWavesPerEU: 10
; Occupancy: 10
; WaveLimiterHint : 0
; COMPUTE_PGM_RSRC2:SCRATCH_EN: 0
; COMPUTE_PGM_RSRC2:USER_SGPR: 6
; COMPUTE_PGM_RSRC2:TRAP_HANDLER: 0
; COMPUTE_PGM_RSRC2:TGID_X_EN: 1
; COMPUTE_PGM_RSRC2:TGID_Y_EN: 0
; COMPUTE_PGM_RSRC2:TGID_Z_EN: 0
; COMPUTE_PGM_RSRC2:TIDIG_COMP_CNT: 0
	.section	.text._ZN7rocprim17ROCPRIM_304000_NS6detail45device_block_merge_mergepath_partition_kernelINS1_37wrapped_merge_sort_block_merge_configINS0_14default_configEtN2at4cuda3cub6detail10OpaqueTypeILi8EEEEEPtjNS1_19radix_merge_compareILb0ELb1EtNS0_19identity_decomposerEEEEEvT0_T1_jPSH_T2_SH_,"axG",@progbits,_ZN7rocprim17ROCPRIM_304000_NS6detail45device_block_merge_mergepath_partition_kernelINS1_37wrapped_merge_sort_block_merge_configINS0_14default_configEtN2at4cuda3cub6detail10OpaqueTypeILi8EEEEEPtjNS1_19radix_merge_compareILb0ELb1EtNS0_19identity_decomposerEEEEEvT0_T1_jPSH_T2_SH_,comdat
	.protected	_ZN7rocprim17ROCPRIM_304000_NS6detail45device_block_merge_mergepath_partition_kernelINS1_37wrapped_merge_sort_block_merge_configINS0_14default_configEtN2at4cuda3cub6detail10OpaqueTypeILi8EEEEEPtjNS1_19radix_merge_compareILb0ELb1EtNS0_19identity_decomposerEEEEEvT0_T1_jPSH_T2_SH_ ; -- Begin function _ZN7rocprim17ROCPRIM_304000_NS6detail45device_block_merge_mergepath_partition_kernelINS1_37wrapped_merge_sort_block_merge_configINS0_14default_configEtN2at4cuda3cub6detail10OpaqueTypeILi8EEEEEPtjNS1_19radix_merge_compareILb0ELb1EtNS0_19identity_decomposerEEEEEvT0_T1_jPSH_T2_SH_
	.globl	_ZN7rocprim17ROCPRIM_304000_NS6detail45device_block_merge_mergepath_partition_kernelINS1_37wrapped_merge_sort_block_merge_configINS0_14default_configEtN2at4cuda3cub6detail10OpaqueTypeILi8EEEEEPtjNS1_19radix_merge_compareILb0ELb1EtNS0_19identity_decomposerEEEEEvT0_T1_jPSH_T2_SH_
	.p2align	8
	.type	_ZN7rocprim17ROCPRIM_304000_NS6detail45device_block_merge_mergepath_partition_kernelINS1_37wrapped_merge_sort_block_merge_configINS0_14default_configEtN2at4cuda3cub6detail10OpaqueTypeILi8EEEEEPtjNS1_19radix_merge_compareILb0ELb1EtNS0_19identity_decomposerEEEEEvT0_T1_jPSH_T2_SH_,@function
_ZN7rocprim17ROCPRIM_304000_NS6detail45device_block_merge_mergepath_partition_kernelINS1_37wrapped_merge_sort_block_merge_configINS0_14default_configEtN2at4cuda3cub6detail10OpaqueTypeILi8EEEEEPtjNS1_19radix_merge_compareILb0ELb1EtNS0_19identity_decomposerEEEEEvT0_T1_jPSH_T2_SH_: ; @_ZN7rocprim17ROCPRIM_304000_NS6detail45device_block_merge_mergepath_partition_kernelINS1_37wrapped_merge_sort_block_merge_configINS0_14default_configEtN2at4cuda3cub6detail10OpaqueTypeILi8EEEEEPtjNS1_19radix_merge_compareILb0ELb1EtNS0_19identity_decomposerEEEEEvT0_T1_jPSH_T2_SH_
; %bb.0:
	s_load_dwordx2 s[2:3], s[4:5], 0x8
	v_lshl_or_b32 v0, s6, 7, v0
	s_waitcnt lgkmcnt(0)
	v_cmp_gt_u32_e32 vcc, s3, v0
	s_and_saveexec_b64 s[0:1], vcc
	s_cbranch_execz .LBB20_6
; %bb.1:
	s_load_dwordx2 s[0:1], s[4:5], 0x18
	s_waitcnt lgkmcnt(0)
	s_lshr_b32 s3, s1, 9
	s_and_b32 s3, s3, 0x7ffffe
	s_add_i32 s6, s3, -1
	s_sub_i32 s3, 0, s3
	v_and_b32_e32 v1, s3, v0
	v_lshlrev_b32_e32 v3, 10, v1
	v_min_u32_e32 v1, s2, v3
	v_add_u32_e32 v3, s1, v3
	v_min_u32_e32 v3, s2, v3
	v_add_u32_e32 v4, s1, v3
	v_and_b32_e32 v2, s6, v0
	v_min_u32_e32 v4, s2, v4
	v_lshlrev_b32_e32 v2, 10, v2
	v_sub_u32_e32 v5, v4, v1
	v_min_u32_e32 v6, v5, v2
	v_sub_u32_e32 v2, v3, v1
	v_sub_u32_e32 v4, v4, v3
	v_sub_u32_e64 v5, v6, v4 clamp
	v_min_u32_e32 v7, v6, v2
	v_cmp_lt_u32_e32 vcc, v5, v7
	s_and_saveexec_b64 s[2:3], vcc
	s_cbranch_execz .LBB20_5
; %bb.2:
	s_load_dwordx2 s[6:7], s[4:5], 0x0
	v_mov_b32_e32 v4, 0
	v_mov_b32_e32 v2, v4
	v_lshlrev_b64 v[8:9], 1, v[1:2]
	s_waitcnt lgkmcnt(0)
	v_mov_b32_e32 v11, s7
	v_add_co_u32_e32 v2, vcc, s6, v8
	v_addc_co_u32_e32 v8, vcc, v11, v9, vcc
	v_lshlrev_b64 v[9:10], 1, v[3:4]
	v_add_co_u32_e32 v9, vcc, s6, v9
	v_addc_co_u32_e32 v10, vcc, v11, v10, vcc
	s_mov_b64 s[6:7], 0
.LBB20_3:                               ; =>This Inner Loop Header: Depth=1
	v_add_u32_e32 v3, v7, v5
	v_and_b32_e32 v11, -2, v3
	v_lshrrev_b32_e32 v13, 1, v3
	v_add_co_u32_e32 v11, vcc, v2, v11
	v_xad_u32 v3, v13, -1, v6
	v_addc_co_u32_e32 v12, vcc, 0, v8, vcc
	global_load_ushort v14, v[11:12], off
	v_lshlrev_b64 v[11:12], 1, v[3:4]
	v_add_co_u32_e32 v11, vcc, v9, v11
	v_addc_co_u32_e32 v12, vcc, v10, v12, vcc
	global_load_ushort v3, v[11:12], off
	v_add_u32_e32 v11, 1, v13
	s_waitcnt vmcnt(1)
	v_and_b32_e32 v12, s0, v14
	s_waitcnt vmcnt(0)
	v_and_b32_e32 v3, s0, v3
	v_cmp_gt_u16_e32 vcc, v12, v3
	v_cndmask_b32_e32 v7, v7, v13, vcc
	v_cndmask_b32_e32 v5, v11, v5, vcc
	v_cmp_ge_u32_e32 vcc, v5, v7
	s_or_b64 s[6:7], vcc, s[6:7]
	s_andn2_b64 exec, exec, s[6:7]
	s_cbranch_execnz .LBB20_3
; %bb.4:
	s_or_b64 exec, exec, s[6:7]
.LBB20_5:
	s_or_b64 exec, exec, s[2:3]
	s_load_dwordx2 s[0:1], s[4:5], 0x10
	v_add_u32_e32 v2, v5, v1
	v_mov_b32_e32 v1, 0
	v_lshlrev_b64 v[0:1], 2, v[0:1]
	s_waitcnt lgkmcnt(0)
	v_mov_b32_e32 v3, s1
	v_add_co_u32_e32 v0, vcc, s0, v0
	v_addc_co_u32_e32 v1, vcc, v3, v1, vcc
	global_store_dword v[0:1], v2, off
.LBB20_6:
	s_endpgm
	.section	.rodata,"a",@progbits
	.p2align	6, 0x0
	.amdhsa_kernel _ZN7rocprim17ROCPRIM_304000_NS6detail45device_block_merge_mergepath_partition_kernelINS1_37wrapped_merge_sort_block_merge_configINS0_14default_configEtN2at4cuda3cub6detail10OpaqueTypeILi8EEEEEPtjNS1_19radix_merge_compareILb0ELb1EtNS0_19identity_decomposerEEEEEvT0_T1_jPSH_T2_SH_
		.amdhsa_group_segment_fixed_size 0
		.amdhsa_private_segment_fixed_size 0
		.amdhsa_kernarg_size 32
		.amdhsa_user_sgpr_count 6
		.amdhsa_user_sgpr_private_segment_buffer 1
		.amdhsa_user_sgpr_dispatch_ptr 0
		.amdhsa_user_sgpr_queue_ptr 0
		.amdhsa_user_sgpr_kernarg_segment_ptr 1
		.amdhsa_user_sgpr_dispatch_id 0
		.amdhsa_user_sgpr_flat_scratch_init 0
		.amdhsa_user_sgpr_private_segment_size 0
		.amdhsa_uses_dynamic_stack 0
		.amdhsa_system_sgpr_private_segment_wavefront_offset 0
		.amdhsa_system_sgpr_workgroup_id_x 1
		.amdhsa_system_sgpr_workgroup_id_y 0
		.amdhsa_system_sgpr_workgroup_id_z 0
		.amdhsa_system_sgpr_workgroup_info 0
		.amdhsa_system_vgpr_workitem_id 0
		.amdhsa_next_free_vgpr 15
		.amdhsa_next_free_sgpr 8
		.amdhsa_reserve_vcc 1
		.amdhsa_reserve_flat_scratch 0
		.amdhsa_float_round_mode_32 0
		.amdhsa_float_round_mode_16_64 0
		.amdhsa_float_denorm_mode_32 3
		.amdhsa_float_denorm_mode_16_64 3
		.amdhsa_dx10_clamp 1
		.amdhsa_ieee_mode 1
		.amdhsa_fp16_overflow 0
		.amdhsa_exception_fp_ieee_invalid_op 0
		.amdhsa_exception_fp_denorm_src 0
		.amdhsa_exception_fp_ieee_div_zero 0
		.amdhsa_exception_fp_ieee_overflow 0
		.amdhsa_exception_fp_ieee_underflow 0
		.amdhsa_exception_fp_ieee_inexact 0
		.amdhsa_exception_int_div_zero 0
	.end_amdhsa_kernel
	.section	.text._ZN7rocprim17ROCPRIM_304000_NS6detail45device_block_merge_mergepath_partition_kernelINS1_37wrapped_merge_sort_block_merge_configINS0_14default_configEtN2at4cuda3cub6detail10OpaqueTypeILi8EEEEEPtjNS1_19radix_merge_compareILb0ELb1EtNS0_19identity_decomposerEEEEEvT0_T1_jPSH_T2_SH_,"axG",@progbits,_ZN7rocprim17ROCPRIM_304000_NS6detail45device_block_merge_mergepath_partition_kernelINS1_37wrapped_merge_sort_block_merge_configINS0_14default_configEtN2at4cuda3cub6detail10OpaqueTypeILi8EEEEEPtjNS1_19radix_merge_compareILb0ELb1EtNS0_19identity_decomposerEEEEEvT0_T1_jPSH_T2_SH_,comdat
.Lfunc_end20:
	.size	_ZN7rocprim17ROCPRIM_304000_NS6detail45device_block_merge_mergepath_partition_kernelINS1_37wrapped_merge_sort_block_merge_configINS0_14default_configEtN2at4cuda3cub6detail10OpaqueTypeILi8EEEEEPtjNS1_19radix_merge_compareILb0ELb1EtNS0_19identity_decomposerEEEEEvT0_T1_jPSH_T2_SH_, .Lfunc_end20-_ZN7rocprim17ROCPRIM_304000_NS6detail45device_block_merge_mergepath_partition_kernelINS1_37wrapped_merge_sort_block_merge_configINS0_14default_configEtN2at4cuda3cub6detail10OpaqueTypeILi8EEEEEPtjNS1_19radix_merge_compareILb0ELb1EtNS0_19identity_decomposerEEEEEvT0_T1_jPSH_T2_SH_
                                        ; -- End function
	.set _ZN7rocprim17ROCPRIM_304000_NS6detail45device_block_merge_mergepath_partition_kernelINS1_37wrapped_merge_sort_block_merge_configINS0_14default_configEtN2at4cuda3cub6detail10OpaqueTypeILi8EEEEEPtjNS1_19radix_merge_compareILb0ELb1EtNS0_19identity_decomposerEEEEEvT0_T1_jPSH_T2_SH_.num_vgpr, 15
	.set _ZN7rocprim17ROCPRIM_304000_NS6detail45device_block_merge_mergepath_partition_kernelINS1_37wrapped_merge_sort_block_merge_configINS0_14default_configEtN2at4cuda3cub6detail10OpaqueTypeILi8EEEEEPtjNS1_19radix_merge_compareILb0ELb1EtNS0_19identity_decomposerEEEEEvT0_T1_jPSH_T2_SH_.num_agpr, 0
	.set _ZN7rocprim17ROCPRIM_304000_NS6detail45device_block_merge_mergepath_partition_kernelINS1_37wrapped_merge_sort_block_merge_configINS0_14default_configEtN2at4cuda3cub6detail10OpaqueTypeILi8EEEEEPtjNS1_19radix_merge_compareILb0ELb1EtNS0_19identity_decomposerEEEEEvT0_T1_jPSH_T2_SH_.numbered_sgpr, 8
	.set _ZN7rocprim17ROCPRIM_304000_NS6detail45device_block_merge_mergepath_partition_kernelINS1_37wrapped_merge_sort_block_merge_configINS0_14default_configEtN2at4cuda3cub6detail10OpaqueTypeILi8EEEEEPtjNS1_19radix_merge_compareILb0ELb1EtNS0_19identity_decomposerEEEEEvT0_T1_jPSH_T2_SH_.num_named_barrier, 0
	.set _ZN7rocprim17ROCPRIM_304000_NS6detail45device_block_merge_mergepath_partition_kernelINS1_37wrapped_merge_sort_block_merge_configINS0_14default_configEtN2at4cuda3cub6detail10OpaqueTypeILi8EEEEEPtjNS1_19radix_merge_compareILb0ELb1EtNS0_19identity_decomposerEEEEEvT0_T1_jPSH_T2_SH_.private_seg_size, 0
	.set _ZN7rocprim17ROCPRIM_304000_NS6detail45device_block_merge_mergepath_partition_kernelINS1_37wrapped_merge_sort_block_merge_configINS0_14default_configEtN2at4cuda3cub6detail10OpaqueTypeILi8EEEEEPtjNS1_19radix_merge_compareILb0ELb1EtNS0_19identity_decomposerEEEEEvT0_T1_jPSH_T2_SH_.uses_vcc, 1
	.set _ZN7rocprim17ROCPRIM_304000_NS6detail45device_block_merge_mergepath_partition_kernelINS1_37wrapped_merge_sort_block_merge_configINS0_14default_configEtN2at4cuda3cub6detail10OpaqueTypeILi8EEEEEPtjNS1_19radix_merge_compareILb0ELb1EtNS0_19identity_decomposerEEEEEvT0_T1_jPSH_T2_SH_.uses_flat_scratch, 0
	.set _ZN7rocprim17ROCPRIM_304000_NS6detail45device_block_merge_mergepath_partition_kernelINS1_37wrapped_merge_sort_block_merge_configINS0_14default_configEtN2at4cuda3cub6detail10OpaqueTypeILi8EEEEEPtjNS1_19radix_merge_compareILb0ELb1EtNS0_19identity_decomposerEEEEEvT0_T1_jPSH_T2_SH_.has_dyn_sized_stack, 0
	.set _ZN7rocprim17ROCPRIM_304000_NS6detail45device_block_merge_mergepath_partition_kernelINS1_37wrapped_merge_sort_block_merge_configINS0_14default_configEtN2at4cuda3cub6detail10OpaqueTypeILi8EEEEEPtjNS1_19radix_merge_compareILb0ELb1EtNS0_19identity_decomposerEEEEEvT0_T1_jPSH_T2_SH_.has_recursion, 0
	.set _ZN7rocprim17ROCPRIM_304000_NS6detail45device_block_merge_mergepath_partition_kernelINS1_37wrapped_merge_sort_block_merge_configINS0_14default_configEtN2at4cuda3cub6detail10OpaqueTypeILi8EEEEEPtjNS1_19radix_merge_compareILb0ELb1EtNS0_19identity_decomposerEEEEEvT0_T1_jPSH_T2_SH_.has_indirect_call, 0
	.section	.AMDGPU.csdata,"",@progbits
; Kernel info:
; codeLenInByte = 368
; TotalNumSgprs: 12
; NumVgprs: 15
; ScratchSize: 0
; MemoryBound: 0
; FloatMode: 240
; IeeeMode: 1
; LDSByteSize: 0 bytes/workgroup (compile time only)
; SGPRBlocks: 1
; VGPRBlocks: 3
; NumSGPRsForWavesPerEU: 12
; NumVGPRsForWavesPerEU: 15
; Occupancy: 10
; WaveLimiterHint : 0
; COMPUTE_PGM_RSRC2:SCRATCH_EN: 0
; COMPUTE_PGM_RSRC2:USER_SGPR: 6
; COMPUTE_PGM_RSRC2:TRAP_HANDLER: 0
; COMPUTE_PGM_RSRC2:TGID_X_EN: 1
; COMPUTE_PGM_RSRC2:TGID_Y_EN: 0
; COMPUTE_PGM_RSRC2:TGID_Z_EN: 0
; COMPUTE_PGM_RSRC2:TIDIG_COMP_CNT: 0
	.section	.text._ZN7rocprim17ROCPRIM_304000_NS6detail35device_block_merge_mergepath_kernelINS1_37wrapped_merge_sort_block_merge_configINS0_14default_configEtN2at4cuda3cub6detail10OpaqueTypeILi8EEEEEPtSC_PSA_SD_jNS1_19radix_merge_compareILb0ELb1EtNS0_19identity_decomposerEEEEEvT0_T1_T2_T3_T4_SL_jT5_PKSL_NS1_7vsmem_tE,"axG",@progbits,_ZN7rocprim17ROCPRIM_304000_NS6detail35device_block_merge_mergepath_kernelINS1_37wrapped_merge_sort_block_merge_configINS0_14default_configEtN2at4cuda3cub6detail10OpaqueTypeILi8EEEEEPtSC_PSA_SD_jNS1_19radix_merge_compareILb0ELb1EtNS0_19identity_decomposerEEEEEvT0_T1_T2_T3_T4_SL_jT5_PKSL_NS1_7vsmem_tE,comdat
	.protected	_ZN7rocprim17ROCPRIM_304000_NS6detail35device_block_merge_mergepath_kernelINS1_37wrapped_merge_sort_block_merge_configINS0_14default_configEtN2at4cuda3cub6detail10OpaqueTypeILi8EEEEEPtSC_PSA_SD_jNS1_19radix_merge_compareILb0ELb1EtNS0_19identity_decomposerEEEEEvT0_T1_T2_T3_T4_SL_jT5_PKSL_NS1_7vsmem_tE ; -- Begin function _ZN7rocprim17ROCPRIM_304000_NS6detail35device_block_merge_mergepath_kernelINS1_37wrapped_merge_sort_block_merge_configINS0_14default_configEtN2at4cuda3cub6detail10OpaqueTypeILi8EEEEEPtSC_PSA_SD_jNS1_19radix_merge_compareILb0ELb1EtNS0_19identity_decomposerEEEEEvT0_T1_T2_T3_T4_SL_jT5_PKSL_NS1_7vsmem_tE
	.globl	_ZN7rocprim17ROCPRIM_304000_NS6detail35device_block_merge_mergepath_kernelINS1_37wrapped_merge_sort_block_merge_configINS0_14default_configEtN2at4cuda3cub6detail10OpaqueTypeILi8EEEEEPtSC_PSA_SD_jNS1_19radix_merge_compareILb0ELb1EtNS0_19identity_decomposerEEEEEvT0_T1_T2_T3_T4_SL_jT5_PKSL_NS1_7vsmem_tE
	.p2align	8
	.type	_ZN7rocprim17ROCPRIM_304000_NS6detail35device_block_merge_mergepath_kernelINS1_37wrapped_merge_sort_block_merge_configINS0_14default_configEtN2at4cuda3cub6detail10OpaqueTypeILi8EEEEEPtSC_PSA_SD_jNS1_19radix_merge_compareILb0ELb1EtNS0_19identity_decomposerEEEEEvT0_T1_T2_T3_T4_SL_jT5_PKSL_NS1_7vsmem_tE,@function
_ZN7rocprim17ROCPRIM_304000_NS6detail35device_block_merge_mergepath_kernelINS1_37wrapped_merge_sort_block_merge_configINS0_14default_configEtN2at4cuda3cub6detail10OpaqueTypeILi8EEEEEPtSC_PSA_SD_jNS1_19radix_merge_compareILb0ELb1EtNS0_19identity_decomposerEEEEEvT0_T1_T2_T3_T4_SL_jT5_PKSL_NS1_7vsmem_tE: ; @_ZN7rocprim17ROCPRIM_304000_NS6detail35device_block_merge_mergepath_kernelINS1_37wrapped_merge_sort_block_merge_configINS0_14default_configEtN2at4cuda3cub6detail10OpaqueTypeILi8EEEEEPtSC_PSA_SD_jNS1_19radix_merge_compareILb0ELb1EtNS0_19identity_decomposerEEEEEvT0_T1_T2_T3_T4_SL_jT5_PKSL_NS1_7vsmem_tE
; %bb.0:
	s_load_dwordx2 s[10:11], s[4:5], 0x40
	s_load_dwordx4 s[20:23], s[4:5], 0x20
	s_add_u32 s2, s4, 64
	s_addc_u32 s3, s5, 0
	s_waitcnt lgkmcnt(0)
	s_mul_i32 s0, s11, s8
	s_add_i32 s0, s0, s7
	s_mul_i32 s0, s0, s10
	s_add_i32 s0, s0, s6
	s_cmp_ge_u32 s0, s22
	s_cbranch_scc1 .LBB21_105
; %bb.1:
	s_load_dwordx8 s[12:19], s[4:5], 0x0
	s_load_dwordx2 s[8:9], s[4:5], 0x30
	s_lshr_b32 s11, s20, 10
	s_cmp_lg_u32 s0, s11
	s_mov_b32 s1, 0
	s_cselect_b64 s[24:25], -1, 0
	s_lshl_b64 s[4:5], s[0:1], 2
	s_waitcnt lgkmcnt(0)
	s_add_u32 s4, s8, s4
	s_addc_u32 s5, s9, s5
	s_load_dwordx2 s[26:27], s[4:5], 0x0
	s_lshr_b32 s4, s21, 9
	s_and_b32 s4, s4, 0x7ffffe
	s_sub_i32 s4, 0, s4
	s_and_b32 s5, s0, s4
	s_lshl_b32 s7, s5, 10
	s_lshl_b32 s22, s0, 10
	;; [unrolled: 1-line block ×3, first 2 shown]
	s_sub_i32 s8, s22, s7
	s_add_i32 s5, s5, s21
	s_add_i32 s8, s5, s8
	s_waitcnt lgkmcnt(0)
	s_sub_i32 s9, s8, s26
	s_sub_i32 s8, s8, s27
	;; [unrolled: 1-line block ×3, first 2 shown]
	s_min_u32 s28, s20, s9
	s_addk_i32 s8, 0x400
	s_or_b32 s4, s0, s4
	s_min_u32 s7, s20, s5
	s_add_i32 s5, s5, s21
	s_cmp_eq_u32 s4, -1
	s_cselect_b32 s4, s5, s8
	s_cselect_b32 s5, s7, s27
	s_min_u32 s4, s4, s20
	s_mov_b32 s27, s1
	s_sub_i32 s33, s5, s26
	s_sub_i32 s34, s4, s28
	s_lshl_b64 s[8:9], s[26:27], 1
	s_add_u32 s5, s12, s8
	s_mov_b32 s29, s1
	s_addc_u32 s7, s13, s9
	s_lshl_b64 s[8:9], s[28:29], 1
	s_add_u32 s4, s12, s8
	v_mov_b32_e32 v6, 0
	global_load_dword v1, v6, s[2:3] offset:14
	s_addc_u32 s8, s13, s9
	s_cmp_lt_u32 s6, s10
	s_cselect_b32 s1, 12, 18
	s_add_u32 s2, s2, s1
	s_addc_u32 s3, s3, 0
	global_load_ushort v2, v6, s[2:3]
	s_cmp_eq_u32 s0, s11
	v_cmp_gt_u32_e32 vcc, s33, v0
	v_lshlrev_b32_e32 v9, 1, v0
	s_waitcnt vmcnt(1)
	v_lshrrev_b32_e32 v3, 16, v1
	v_and_b32_e32 v1, 0xffff, v1
	v_mul_lo_u32 v1, v1, v3
	s_waitcnt vmcnt(0)
	v_mul_lo_u32 v7, v1, v2
	v_add_u32_e32 v5, v7, v0
	s_cbranch_scc1 .LBB21_3
; %bb.2:
	v_mov_b32_e32 v1, s7
	v_add_co_u32_e64 v3, s[0:1], s5, v9
	v_subrev_u32_e32 v2, s33, v0
	v_addc_co_u32_e64 v1, s[0:1], 0, v1, s[0:1]
	v_lshlrev_b32_e32 v2, 1, v2
	v_mov_b32_e32 v4, s8
	v_add_co_u32_e64 v8, s[0:1], s4, v2
	v_addc_co_u32_e64 v2, s[0:1], 0, v4, s[0:1]
	v_cndmask_b32_e32 v2, v2, v1, vcc
	v_cndmask_b32_e32 v1, v8, v3, vcc
	global_load_ushort v4, v[1:2], off
	v_lshlrev_b64 v[1:2], 1, v[5:6]
	v_mov_b32_e32 v3, s7
	v_add_co_u32_e32 v8, vcc, s5, v1
	v_addc_co_u32_e32 v3, vcc, v3, v2, vcc
	v_subrev_co_u32_e32 v1, vcc, s33, v5
	v_mov_b32_e32 v2, v6
	v_lshlrev_b64 v[1:2], 1, v[1:2]
	v_mov_b32_e32 v10, s8
	v_add_co_u32_e64 v1, s[0:1], s4, v1
	v_addc_co_u32_e64 v2, s[0:1], v10, v2, s[0:1]
	v_cndmask_b32_e32 v2, v2, v3, vcc
	v_cndmask_b32_e32 v1, v1, v8, vcc
	global_load_ushort v8, v[1:2], off
	v_add_u32_e32 v1, v5, v7
	v_mov_b32_e32 v2, v6
	v_lshlrev_b64 v[2:3], 1, v[1:2]
	v_mov_b32_e32 v10, s7
	v_add_co_u32_e32 v11, vcc, s5, v2
	v_addc_co_u32_e32 v10, vcc, v10, v3, vcc
	v_subrev_co_u32_e32 v2, vcc, s33, v1
	v_mov_b32_e32 v3, v6
	v_lshlrev_b64 v[2:3], 1, v[2:3]
	v_mov_b32_e32 v12, s8
	v_add_co_u32_e64 v2, s[0:1], s4, v2
	v_addc_co_u32_e64 v3, s[0:1], v12, v3, s[0:1]
	v_cndmask_b32_e32 v3, v3, v10, vcc
	v_cndmask_b32_e32 v2, v2, v11, vcc
	global_load_ushort v10, v[2:3], off
	v_add_u32_e32 v1, v1, v7
	v_mov_b32_e32 v2, v6
	;; [unrolled: 15-line block ×6, first 2 shown]
	v_lshlrev_b64 v[2:3], 1, v[1:2]
	v_mov_b32_e32 v15, s7
	v_add_co_u32_e32 v16, vcc, s5, v2
	v_addc_co_u32_e32 v3, vcc, v15, v3, vcc
	v_subrev_co_u32_e32 v1, vcc, s33, v1
	v_mov_b32_e32 v2, v6
	v_lshlrev_b64 v[1:2], 1, v[1:2]
	v_mov_b32_e32 v6, s8
	v_add_co_u32_e64 v1, s[0:1], s4, v1
	v_addc_co_u32_e64 v2, s[0:1], v6, v2, s[0:1]
	v_cndmask_b32_e32 v2, v2, v3, vcc
	v_cndmask_b32_e32 v1, v1, v16, vcc
	global_load_ushort v6, v[1:2], off
	s_mov_b32 s0, 0x5040100
	s_waitcnt vmcnt(6)
	v_perm_b32 v1, v8, v4, s0
	s_waitcnt vmcnt(4)
	v_perm_b32 v2, v11, v10, s0
	s_add_i32 s21, s34, s33
	s_waitcnt vmcnt(2)
	v_perm_b32 v3, v13, v12, s0
	s_waitcnt vmcnt(0)
	v_perm_b32 v4, v6, v14, s0
	s_cbranch_execz .LBB21_4
	s_branch .LBB21_21
.LBB21_3:
                                        ; implicit-def: $vgpr1_vgpr2_vgpr3_vgpr4
                                        ; implicit-def: $sgpr21
.LBB21_4:
	s_add_i32 s21, s34, s33
	v_mov_b32_e32 v1, 0
	v_cmp_gt_u32_e32 vcc, s21, v0
	v_mov_b32_e32 v2, v1
	v_mov_b32_e32 v3, v1
	;; [unrolled: 1-line block ×3, first 2 shown]
	s_and_saveexec_b64 s[0:1], vcc
	s_cbranch_execz .LBB21_6
; %bb.5:
	v_mov_b32_e32 v2, s7
	v_add_co_u32_e32 v4, vcc, s5, v9
	v_subrev_u32_e32 v3, s33, v0
	v_addc_co_u32_e32 v2, vcc, 0, v2, vcc
	v_lshlrev_b32_e32 v3, 1, v3
	v_mov_b32_e32 v6, s8
	v_add_co_u32_e32 v8, vcc, s4, v3
	v_addc_co_u32_e32 v3, vcc, 0, v6, vcc
	v_cmp_gt_u32_e32 vcc, s33, v0
	v_cndmask_b32_e32 v3, v3, v2, vcc
	v_cndmask_b32_e32 v2, v8, v4, vcc
	global_load_ushort v2, v[2:3], off
	v_mov_b32_e32 v11, v1
	v_mov_b32_e32 v12, v1
	;; [unrolled: 1-line block ×3, first 2 shown]
	s_waitcnt vmcnt(0)
	v_and_b32_e32 v10, 0xffff, v2
	v_mov_b32_e32 v1, v10
	v_mov_b32_e32 v2, v11
	;; [unrolled: 1-line block ×4, first 2 shown]
.LBB21_6:
	s_or_b64 exec, exec, s[0:1]
	v_cmp_gt_u32_e32 vcc, s21, v5
	s_and_saveexec_b64 s[2:3], vcc
	s_cbranch_execz .LBB21_8
; %bb.7:
	v_mov_b32_e32 v6, 0
	v_lshlrev_b64 v[10:11], 1, v[5:6]
	v_mov_b32_e32 v8, s7
	v_add_co_u32_e32 v12, vcc, s5, v10
	v_addc_co_u32_e32 v8, vcc, v8, v11, vcc
	v_subrev_co_u32_e32 v10, vcc, s33, v5
	v_mov_b32_e32 v11, v6
	v_lshlrev_b64 v[10:11], 1, v[10:11]
	v_mov_b32_e32 v6, s8
	v_add_co_u32_e64 v10, s[0:1], s4, v10
	v_addc_co_u32_e64 v6, s[0:1], v6, v11, s[0:1]
	v_cndmask_b32_e32 v11, v6, v8, vcc
	v_cndmask_b32_e32 v10, v10, v12, vcc
	global_load_ushort v6, v[10:11], off
	s_mov_b32 s0, 0x5040100
	s_waitcnt vmcnt(0)
	v_perm_b32 v1, v6, v1, s0
.LBB21_8:
	s_or_b64 exec, exec, s[2:3]
	v_add_u32_e32 v5, v5, v7
	v_cmp_gt_u32_e32 vcc, s21, v5
	s_and_saveexec_b64 s[2:3], vcc
	s_cbranch_execz .LBB21_10
; %bb.9:
	v_mov_b32_e32 v6, 0
	v_lshlrev_b64 v[10:11], 1, v[5:6]
	v_mov_b32_e32 v8, s7
	v_add_co_u32_e32 v12, vcc, s5, v10
	v_addc_co_u32_e32 v8, vcc, v8, v11, vcc
	v_subrev_co_u32_e32 v10, vcc, s33, v5
	v_mov_b32_e32 v11, v6
	v_lshlrev_b64 v[10:11], 1, v[10:11]
	v_mov_b32_e32 v6, s8
	v_add_co_u32_e64 v10, s[0:1], s4, v10
	v_addc_co_u32_e64 v6, s[0:1], v6, v11, s[0:1]
	v_cndmask_b32_e32 v11, v6, v8, vcc
	v_cndmask_b32_e32 v10, v10, v12, vcc
	global_load_ushort v6, v[10:11], off
	s_mov_b32 s0, 0xffff
	s_waitcnt vmcnt(0)
	v_bfi_b32 v2, s0, v6, v2
.LBB21_10:
	s_or_b64 exec, exec, s[2:3]
	v_add_u32_e32 v5, v5, v7
	v_cmp_gt_u32_e32 vcc, s21, v5
	s_and_saveexec_b64 s[2:3], vcc
	s_cbranch_execz .LBB21_12
; %bb.11:
	v_mov_b32_e32 v6, 0
	v_lshlrev_b64 v[10:11], 1, v[5:6]
	v_mov_b32_e32 v8, s7
	v_add_co_u32_e32 v12, vcc, s5, v10
	v_addc_co_u32_e32 v8, vcc, v8, v11, vcc
	v_subrev_co_u32_e32 v10, vcc, s33, v5
	v_mov_b32_e32 v11, v6
	v_lshlrev_b64 v[10:11], 1, v[10:11]
	v_mov_b32_e32 v6, s8
	v_add_co_u32_e64 v10, s[0:1], s4, v10
	v_addc_co_u32_e64 v6, s[0:1], v6, v11, s[0:1]
	v_cndmask_b32_e32 v11, v6, v8, vcc
	v_cndmask_b32_e32 v10, v10, v12, vcc
	global_load_ushort v6, v[10:11], off
	s_mov_b32 s0, 0x5040100
	s_waitcnt vmcnt(0)
	v_perm_b32 v2, v6, v2, s0
.LBB21_12:
	s_or_b64 exec, exec, s[2:3]
	v_add_u32_e32 v5, v5, v7
	v_cmp_gt_u32_e32 vcc, s21, v5
	s_and_saveexec_b64 s[2:3], vcc
	s_cbranch_execz .LBB21_14
; %bb.13:
	v_mov_b32_e32 v6, 0
	v_lshlrev_b64 v[10:11], 1, v[5:6]
	v_mov_b32_e32 v8, s7
	v_add_co_u32_e32 v12, vcc, s5, v10
	v_addc_co_u32_e32 v8, vcc, v8, v11, vcc
	v_subrev_co_u32_e32 v10, vcc, s33, v5
	v_mov_b32_e32 v11, v6
	v_lshlrev_b64 v[10:11], 1, v[10:11]
	v_mov_b32_e32 v6, s8
	v_add_co_u32_e64 v10, s[0:1], s4, v10
	v_addc_co_u32_e64 v6, s[0:1], v6, v11, s[0:1]
	v_cndmask_b32_e32 v11, v6, v8, vcc
	v_cndmask_b32_e32 v10, v10, v12, vcc
	global_load_ushort v6, v[10:11], off
	s_mov_b32 s0, 0xffff
	s_waitcnt vmcnt(0)
	v_bfi_b32 v3, s0, v6, v3
.LBB21_14:
	s_or_b64 exec, exec, s[2:3]
	v_add_u32_e32 v5, v5, v7
	;; [unrolled: 48-line block ×3, first 2 shown]
	v_cmp_gt_u32_e32 vcc, s21, v5
	s_and_saveexec_b64 s[2:3], vcc
	s_cbranch_execz .LBB21_20
; %bb.19:
	v_mov_b32_e32 v6, 0
	v_lshlrev_b64 v[7:8], 1, v[5:6]
	v_mov_b32_e32 v10, s7
	v_add_co_u32_e32 v7, vcc, s5, v7
	v_addc_co_u32_e32 v8, vcc, v10, v8, vcc
	v_subrev_co_u32_e32 v5, vcc, s33, v5
	v_lshlrev_b64 v[5:6], 1, v[5:6]
	v_mov_b32_e32 v10, s8
	v_add_co_u32_e64 v5, s[0:1], s4, v5
	v_addc_co_u32_e64 v6, s[0:1], v10, v6, s[0:1]
	v_cndmask_b32_e32 v6, v6, v8, vcc
	v_cndmask_b32_e32 v5, v5, v7, vcc
	global_load_ushort v5, v[5:6], off
	s_mov_b32 s0, 0x5040100
	s_waitcnt vmcnt(0)
	v_perm_b32 v4, v5, v4, s0
.LBB21_20:
	s_or_b64 exec, exec, s[2:3]
.LBB21_21:
	v_lshlrev_b32_e32 v10, 3, v0
	v_min_u32_e32 v6, s21, v10
	v_sub_u32_e64 v5, v6, s34 clamp
	v_min_u32_e32 v7, s33, v6
	v_cmp_lt_u32_e32 vcc, v5, v7
	ds_write_b16 v9, v1
	ds_write_b16_d16_hi v9, v1 offset:256
	ds_write_b16 v9, v2 offset:512
	ds_write_b16_d16_hi v9, v2 offset:768
	ds_write_b16 v9, v3 offset:1024
	;; [unrolled: 2-line block ×3, first 2 shown]
	ds_write_b16_d16_hi v9, v4 offset:1792
	s_waitcnt lgkmcnt(0)
	s_barrier
	s_and_saveexec_b64 s[0:1], vcc
	s_cbranch_execz .LBB21_25
; %bb.22:
	v_lshlrev_b32_e32 v8, 1, v6
	v_lshl_add_u32 v8, s33, 1, v8
	s_mov_b64 s[2:3], 0
.LBB21_23:                              ; =>This Inner Loop Header: Depth=1
	v_add_u32_e32 v11, v7, v5
	v_lshrrev_b32_e32 v12, 1, v11
	v_not_b32_e32 v13, v12
	v_and_b32_e32 v11, -2, v11
	v_lshl_add_u32 v13, v13, 1, v8
	ds_read_u16 v11, v11
	ds_read_u16 v13, v13
	v_add_u32_e32 v14, 1, v12
	s_waitcnt lgkmcnt(1)
	v_and_b32_e32 v11, s23, v11
	s_waitcnt lgkmcnt(0)
	v_and_b32_e32 v13, s23, v13
	v_cmp_gt_u16_e32 vcc, v11, v13
	v_cndmask_b32_e32 v7, v7, v12, vcc
	v_cndmask_b32_e32 v5, v14, v5, vcc
	v_cmp_ge_u32_e32 vcc, v5, v7
	s_or_b64 s[2:3], vcc, s[2:3]
	s_andn2_b64 exec, exec, s[2:3]
	s_cbranch_execnz .LBB21_23
; %bb.24:
	s_or_b64 exec, exec, s[2:3]
.LBB21_25:
	s_or_b64 exec, exec, s[0:1]
	v_sub_u32_e32 v6, v6, v5
	v_add_u32_e32 v6, s33, v6
	v_cmp_ge_u32_e32 vcc, s33, v5
	v_cmp_ge_u32_e64 s[0:1], s21, v6
	s_or_b64 s[0:1], vcc, s[0:1]
	v_mov_b32_e32 v11, 0
	v_mov_b32_e32 v12, 0
	;; [unrolled: 1-line block ×8, first 2 shown]
	s_and_saveexec_b64 s[30:31], s[0:1]
	s_cbranch_execz .LBB21_31
; %bb.26:
	v_cmp_gt_u32_e32 vcc, s33, v5
                                        ; implicit-def: $vgpr1
	s_and_saveexec_b64 s[0:1], vcc
; %bb.27:
	v_lshlrev_b32_e32 v1, 1, v5
	ds_read_u16 v1, v1
; %bb.28:
	s_or_b64 exec, exec, s[0:1]
	v_cmp_le_u32_e64 s[0:1], s21, v6
	v_cmp_gt_u32_e64 s[2:3], s21, v6
                                        ; implicit-def: $vgpr2
	s_and_saveexec_b64 s[4:5], s[2:3]
; %bb.29:
	v_lshlrev_b32_e32 v2, 1, v6
	ds_read_u16 v2, v2
; %bb.30:
	s_or_b64 exec, exec, s[4:5]
	s_waitcnt lgkmcnt(0)
	v_and_b32_e32 v3, s23, v2
	v_and_b32_e32 v4, s23, v1
	v_cmp_le_u16_e64 s[2:3], v4, v3
	s_and_b64 s[2:3], vcc, s[2:3]
	s_or_b64 vcc, s[0:1], s[2:3]
	v_mov_b32_e32 v3, s21
	v_mov_b32_e32 v4, s33
	v_cndmask_b32_e32 v18, v6, v5, vcc
	v_cndmask_b32_e32 v7, v3, v4, vcc
	v_add_u32_e32 v8, 1, v18
	v_add_u32_e32 v7, -1, v7
	v_min_u32_e32 v7, v8, v7
	v_lshlrev_b32_e32 v7, 1, v7
	ds_read_u16 v7, v7
	v_cndmask_b32_e32 v6, v8, v6, vcc
	v_cndmask_b32_e32 v5, v5, v8, vcc
	v_cmp_gt_u32_e64 s[2:3], s33, v5
	v_cmp_le_u32_e64 s[0:1], s21, v6
	s_waitcnt lgkmcnt(0)
	v_cndmask_b32_e32 v11, v7, v2, vcc
	v_cndmask_b32_e32 v7, v1, v7, vcc
	v_and_b32_e32 v8, s23, v11
	v_and_b32_e32 v12, s23, v7
	v_cmp_le_u16_e64 s[4:5], v12, v8
	s_and_b64 s[2:3], s[2:3], s[4:5]
	s_or_b64 s[0:1], s[0:1], s[2:3]
	v_cndmask_b32_e64 v17, v6, v5, s[0:1]
	v_cndmask_b32_e64 v8, v3, v4, s[0:1]
	v_add_u32_e32 v12, 1, v17
	v_add_u32_e32 v8, -1, v8
	v_min_u32_e32 v8, v12, v8
	v_lshlrev_b32_e32 v8, 1, v8
	ds_read_u16 v8, v8
	v_cndmask_b32_e64 v6, v12, v6, s[0:1]
	v_cndmask_b32_e64 v5, v5, v12, s[0:1]
	v_cmp_gt_u32_e64 s[4:5], s33, v5
	v_cmp_le_u32_e64 s[2:3], s21, v6
	s_waitcnt lgkmcnt(0)
	v_cndmask_b32_e64 v19, v8, v11, s[0:1]
	v_cndmask_b32_e64 v8, v7, v8, s[0:1]
	v_and_b32_e32 v12, s23, v19
	v_and_b32_e32 v13, s23, v8
	v_cmp_le_u16_e64 s[6:7], v13, v12
	s_and_b64 s[4:5], s[4:5], s[6:7]
	s_or_b64 s[2:3], s[2:3], s[4:5]
	v_cndmask_b32_e64 v16, v6, v5, s[2:3]
	v_cndmask_b32_e64 v12, v3, v4, s[2:3]
	v_add_u32_e32 v13, 1, v16
	v_add_u32_e32 v12, -1, v12
	v_min_u32_e32 v12, v13, v12
	v_lshlrev_b32_e32 v12, 1, v12
	ds_read_u16 v12, v12
	v_cndmask_b32_e64 v6, v13, v6, s[2:3]
	v_cndmask_b32_e64 v5, v5, v13, s[2:3]
	v_cmp_gt_u32_e64 s[6:7], s33, v5
	v_cmp_le_u32_e64 s[4:5], s21, v6
	s_waitcnt lgkmcnt(0)
	v_cndmask_b32_e64 v20, v12, v19, s[2:3]
	v_cndmask_b32_e64 v21, v8, v12, s[2:3]
	v_and_b32_e32 v12, s23, v20
	v_and_b32_e32 v13, s23, v21
	v_cmp_le_u16_e64 s[8:9], v13, v12
	s_and_b64 s[6:7], s[6:7], s[8:9]
	s_or_b64 s[4:5], s[4:5], s[6:7]
	v_cndmask_b32_e64 v15, v6, v5, s[4:5]
	v_cndmask_b32_e64 v12, v3, v4, s[4:5]
	v_add_u32_e32 v13, 1, v15
	v_add_u32_e32 v12, -1, v12
	v_min_u32_e32 v12, v13, v12
	v_lshlrev_b32_e32 v12, 1, v12
	ds_read_u16 v12, v12
	v_cndmask_b32_e64 v6, v13, v6, s[4:5]
	v_cndmask_b32_e64 v5, v5, v13, s[4:5]
	v_cmp_gt_u32_e64 s[8:9], s33, v5
	v_cmp_le_u32_e64 s[6:7], s21, v6
	s_waitcnt lgkmcnt(0)
	v_cndmask_b32_e64 v22, v12, v20, s[4:5]
	v_cndmask_b32_e64 v23, v21, v12, s[4:5]
	v_and_b32_e32 v12, s23, v22
	v_and_b32_e32 v13, s23, v23
	v_cmp_le_u16_e64 s[10:11], v13, v12
	s_and_b64 s[8:9], s[8:9], s[10:11]
	s_or_b64 s[6:7], s[6:7], s[8:9]
	v_cndmask_b32_e64 v14, v6, v5, s[6:7]
	v_cndmask_b32_e64 v12, v3, v4, s[6:7]
	v_add_u32_e32 v13, 1, v14
	v_add_u32_e32 v12, -1, v12
	v_min_u32_e32 v12, v13, v12
	v_lshlrev_b32_e32 v12, 1, v12
	ds_read_u16 v12, v12
	v_cndmask_b32_e64 v6, v13, v6, s[6:7]
	v_cndmask_b32_e64 v5, v5, v13, s[6:7]
	v_cmp_gt_u32_e64 s[10:11], s33, v5
	v_cmp_le_u32_e64 s[8:9], s21, v6
	s_waitcnt lgkmcnt(0)
	v_cndmask_b32_e64 v24, v12, v22, s[6:7]
	v_cndmask_b32_e64 v25, v23, v12, s[6:7]
	v_and_b32_e32 v12, s23, v24
	v_and_b32_e32 v13, s23, v25
	v_cmp_le_u16_e64 s[12:13], v13, v12
	s_and_b64 s[10:11], s[10:11], s[12:13]
	s_or_b64 s[8:9], s[8:9], s[10:11]
	v_cndmask_b32_e64 v13, v6, v5, s[8:9]
	v_cndmask_b32_e64 v12, v3, v4, s[8:9]
	v_add_u32_e32 v26, 1, v13
	v_add_u32_e32 v12, -1, v12
	v_min_u32_e32 v12, v26, v12
	v_lshlrev_b32_e32 v12, 1, v12
	ds_read_u16 v12, v12
	v_cndmask_b32_e32 v1, v2, v1, vcc
	v_cndmask_b32_e64 v7, v11, v7, s[0:1]
	v_cndmask_b32_e64 v2, v19, v8, s[2:3]
	;; [unrolled: 1-line block ×3, first 2 shown]
	s_waitcnt lgkmcnt(0)
	v_cndmask_b32_e64 v8, v12, v24, s[8:9]
	v_cndmask_b32_e64 v11, v25, v12, s[8:9]
	v_and_b32_e32 v12, s23, v8
	v_and_b32_e32 v19, s23, v11
	v_cndmask_b32_e64 v6, v26, v6, s[8:9]
	v_cmp_gt_u32_e64 s[0:1], s33, v5
	v_cmp_le_u16_e64 s[2:3], v19, v12
	v_cmp_le_u32_e32 vcc, s21, v6
	s_and_b64 s[0:1], s[0:1], s[2:3]
	s_or_b64 vcc, vcc, s[0:1]
	v_cndmask_b32_e32 v12, v6, v5, vcc
	v_cndmask_b32_e32 v3, v3, v4, vcc
	v_add_u32_e32 v4, 1, v12
	v_add_u32_e32 v3, -1, v3
	v_min_u32_e32 v3, v4, v3
	v_lshlrev_b32_e32 v3, 1, v3
	ds_read_u16 v3, v3
	v_cndmask_b32_e64 v19, v20, v21, s[4:5]
	v_cndmask_b32_e64 v20, v22, v23, s[6:7]
	v_cndmask_b32_e32 v22, v8, v11, vcc
	v_cndmask_b32_e32 v6, v4, v6, vcc
	s_waitcnt lgkmcnt(0)
	v_cndmask_b32_e32 v8, v3, v8, vcc
	v_cndmask_b32_e32 v3, v11, v3, vcc
	;; [unrolled: 1-line block ×3, first 2 shown]
	v_and_b32_e32 v5, s23, v8
	v_and_b32_e32 v11, s23, v3
	v_cmp_gt_u32_e64 s[0:1], s33, v4
	v_cmp_le_u16_e64 s[2:3], v11, v5
	v_cmp_le_u32_e32 vcc, s21, v6
	s_and_b64 s[0:1], s[0:1], s[2:3]
	s_or_b64 vcc, vcc, s[0:1]
	v_cndmask_b32_e64 v21, v24, v25, s[8:9]
	v_cndmask_b32_e32 v3, v8, v3, vcc
	s_mov_b32 s0, 0x5040100
	v_cndmask_b32_e32 v11, v6, v4, vcc
	v_perm_b32 v4, v3, v22, s0
	v_perm_b32 v3, v21, v20, s0
	;; [unrolled: 1-line block ×4, first 2 shown]
.LBB21_31:
	s_or_b64 exec, exec, s[30:31]
	s_lshl_b64 s[0:1], s[26:27], 3
	s_add_u32 s8, s16, s0
	s_addc_u32 s9, s17, s1
	s_lshl_b64 s[0:1], s[28:29], 3
	s_add_u32 s6, s16, s0
	v_cndmask_b32_e64 v5, 0, 1, s[24:25]
	s_addc_u32 s7, s17, s1
	v_cmp_gt_u32_e64 s[4:5], s33, v0
	v_cmp_ne_u32_e64 s[0:1], 1, v5
	s_andn2_b64 vcc, exec, s[24:25]
	v_cmp_le_u32_e64 s[2:3], s33, v0
	s_barrier
	s_cbranch_vccnz .LBB21_33
; %bb.32:
	v_mov_b32_e32 v5, s9
	v_add_co_u32_e32 v7, vcc, s8, v10
	v_subrev_u32_e32 v6, s33, v0
	v_addc_co_u32_e32 v5, vcc, 0, v5, vcc
	v_lshlrev_b32_e32 v6, 3, v6
	v_mov_b32_e32 v8, s7
	v_add_co_u32_e32 v19, vcc, s6, v6
	v_addc_co_u32_e32 v6, vcc, 0, v8, vcc
	v_cndmask_b32_e64 v6, v6, v5, s[4:5]
	v_cndmask_b32_e64 v5, v19, v7, s[4:5]
	v_or_b32_e32 v7, 0x80, v0
	v_subrev_u32_e32 v8, s33, v7
	v_min_u32_e32 v8, v7, v8
	v_cmp_gt_u32_e32 vcc, s33, v7
	v_mov_b32_e32 v31, s6
	v_mov_b32_e32 v32, s8
	;; [unrolled: 1-line block ×4, first 2 shown]
	v_cndmask_b32_e32 v7, v31, v32, vcc
	v_lshlrev_b32_e32 v8, 3, v8
	v_cndmask_b32_e32 v19, v29, v30, vcc
	v_add_co_u32_e32 v7, vcc, v7, v8
	v_addc_co_u32_e32 v8, vcc, 0, v19, vcc
	v_or_b32_e32 v19, 0x100, v0
	v_subrev_u32_e32 v20, s33, v19
	v_min_u32_e32 v20, v19, v20
	v_cmp_gt_u32_e32 vcc, s33, v19
	v_cndmask_b32_e32 v19, v31, v32, vcc
	v_lshlrev_b32_e32 v20, 3, v20
	v_cndmask_b32_e32 v21, v29, v30, vcc
	v_add_co_u32_e32 v19, vcc, v19, v20
	v_addc_co_u32_e32 v20, vcc, 0, v21, vcc
	v_or_b32_e32 v21, 0x180, v0
	v_subrev_u32_e32 v22, s33, v21
	v_min_u32_e32 v22, v21, v22
	v_cmp_gt_u32_e32 vcc, s33, v21
	;; [unrolled: 9-line block ×5, first 2 shown]
	global_load_dwordx2 v[5:6], v[5:6], off
	v_cndmask_b32_e32 v27, v31, v32, vcc
	global_load_dwordx2 v[7:8], v[7:8], off
	v_lshlrev_b32_e32 v28, 3, v28
	global_load_dwordx2 v[19:20], v[19:20], off
	v_cndmask_b32_e32 v33, v29, v30, vcc
	global_load_dwordx2 v[21:22], v[21:22], off
	v_add_co_u32_e32 v27, vcc, v27, v28
	global_load_dwordx2 v[23:24], v[23:24], off
	v_addc_co_u32_e32 v28, vcc, 0, v33, vcc
	global_load_dwordx2 v[25:26], v[25:26], off
	s_nop 0
	global_load_dwordx2 v[27:28], v[27:28], off
	s_mov_b64 s[4:5], -1
	s_waitcnt vmcnt(5)
	ds_write2st64_b64 v10, v[5:6], v[7:8] offset1:2
	s_waitcnt vmcnt(3)
	ds_write2st64_b64 v10, v[19:20], v[21:22] offset0:4 offset1:6
	s_waitcnt vmcnt(1)
	ds_write2st64_b64 v10, v[23:24], v[25:26] offset0:8 offset1:10
	s_waitcnt vmcnt(0)
	ds_write_b64 v10, v[27:28] offset:6144
	v_or_b32_e32 v19, 0x380, v0
	v_subrev_u32_e32 v5, s33, v19
	v_cmp_gt_u32_e32 vcc, s33, v19
	v_min_u32_e32 v7, v19, v5
	v_cndmask_b32_e32 v6, v29, v30, vcc
	v_cndmask_b32_e32 v5, v31, v32, vcc
	s_cbranch_execz .LBB21_34
	s_branch .LBB21_67
.LBB21_33:
	s_mov_b64 s[4:5], 0
                                        ; implicit-def: $vgpr19
                                        ; implicit-def: $vgpr5_vgpr6
                                        ; implicit-def: $vgpr7
.LBB21_34:
	s_and_saveexec_b64 s[4:5], s[2:3]
	s_xor_b64 s[2:3], exec, s[4:5]
	s_cbranch_execz .LBB21_38
; %bb.35:
	v_subrev_u32_e32 v5, s33, v0
	v_cmp_gt_u32_e32 vcc, s34, v5
	s_and_saveexec_b64 s[4:5], vcc
	s_cbranch_execz .LBB21_37
; %bb.36:
	v_lshlrev_b32_e32 v5, 3, v5
	global_load_dwordx2 v[5:6], v5, s[6:7]
	s_waitcnt vmcnt(0)
	ds_write_b64 v10, v[5:6]
.LBB21_37:
	s_or_b64 exec, exec, s[4:5]
.LBB21_38:
	s_or_saveexec_b64 s[2:3], s[2:3]
	v_mad_u32_u24 v7, v0, 6, v9
	s_xor_b64 exec, exec, s[2:3]
	s_cbranch_execz .LBB21_40
; %bb.39:
	global_load_dwordx2 v[5:6], v10, s[8:9]
	s_waitcnt vmcnt(0)
	ds_write_b64 v7, v[5:6]
.LBB21_40:
	s_or_b64 exec, exec, s[2:3]
	v_or_b32_e32 v8, 0x80, v0
	v_mov_b32_e32 v5, s26
	v_cmp_le_u32_e32 vcc, s33, v8
	s_mov_b64 s[2:3], -1
	v_mov_b32_e32 v6, s27
	s_and_saveexec_b64 s[4:5], vcc
; %bb.41:
	v_subrev_u32_e32 v8, s33, v8
	v_cmp_gt_u32_e32 vcc, s34, v8
	v_mov_b32_e32 v5, s28
	v_mov_b32_e32 v6, s29
	s_orn2_b64 s[2:3], vcc, exec
; %bb.42:
	s_or_b64 exec, exec, s[4:5]
	s_and_saveexec_b64 s[4:5], s[2:3]
	s_cbranch_execz .LBB21_44
; %bb.43:
	v_lshlrev_b64 v[5:6], 3, v[5:6]
	v_mov_b32_e32 v19, s17
	v_add_co_u32_e32 v5, vcc, s16, v5
	v_addc_co_u32_e32 v6, vcc, v19, v6, vcc
	v_lshlrev_b32_e32 v8, 3, v8
	v_add_co_u32_e32 v5, vcc, v5, v8
	v_addc_co_u32_e32 v6, vcc, 0, v6, vcc
	global_load_dwordx2 v[5:6], v[5:6], off
	s_waitcnt vmcnt(0)
	ds_write_b64 v7, v[5:6] offset:1024
.LBB21_44:
	s_or_b64 exec, exec, s[4:5]
	v_or_b32_e32 v8, 0x100, v0
	v_mov_b32_e32 v5, s26
	v_cmp_le_u32_e32 vcc, s33, v8
	s_mov_b64 s[2:3], -1
	v_mov_b32_e32 v6, s27
	s_and_saveexec_b64 s[4:5], vcc
; %bb.45:
	v_subrev_u32_e32 v8, s33, v8
	v_cmp_gt_u32_e32 vcc, s34, v8
	v_mov_b32_e32 v5, s28
	v_mov_b32_e32 v6, s29
	s_orn2_b64 s[2:3], vcc, exec
; %bb.46:
	s_or_b64 exec, exec, s[4:5]
	s_and_saveexec_b64 s[4:5], s[2:3]
	s_cbranch_execz .LBB21_48
; %bb.47:
	v_lshlrev_b64 v[5:6], 3, v[5:6]
	v_mov_b32_e32 v19, s17
	v_add_co_u32_e32 v5, vcc, s16, v5
	v_addc_co_u32_e32 v6, vcc, v19, v6, vcc
	v_lshlrev_b32_e32 v8, 3, v8
	v_add_co_u32_e32 v5, vcc, v5, v8
	v_addc_co_u32_e32 v6, vcc, 0, v6, vcc
	global_load_dwordx2 v[5:6], v[5:6], off
	s_waitcnt vmcnt(0)
	ds_write_b64 v7, v[5:6] offset:2048
.LBB21_48:
	s_or_b64 exec, exec, s[4:5]
	v_or_b32_e32 v8, 0x180, v0
	v_mov_b32_e32 v5, s26
	v_cmp_le_u32_e32 vcc, s33, v8
	s_mov_b64 s[2:3], -1
	v_mov_b32_e32 v6, s27
	s_and_saveexec_b64 s[4:5], vcc
; %bb.49:
	v_subrev_u32_e32 v8, s33, v8
	v_cmp_gt_u32_e32 vcc, s34, v8
	v_mov_b32_e32 v5, s28
	v_mov_b32_e32 v6, s29
	s_orn2_b64 s[2:3], vcc, exec
; %bb.50:
	s_or_b64 exec, exec, s[4:5]
	s_and_saveexec_b64 s[4:5], s[2:3]
	s_cbranch_execz .LBB21_52
; %bb.51:
	v_lshlrev_b64 v[5:6], 3, v[5:6]
	v_mov_b32_e32 v19, s17
	v_add_co_u32_e32 v5, vcc, s16, v5
	v_addc_co_u32_e32 v6, vcc, v19, v6, vcc
	v_lshlrev_b32_e32 v8, 3, v8
	v_add_co_u32_e32 v5, vcc, v5, v8
	v_addc_co_u32_e32 v6, vcc, 0, v6, vcc
	global_load_dwordx2 v[5:6], v[5:6], off
	s_waitcnt vmcnt(0)
	ds_write_b64 v7, v[5:6] offset:3072
.LBB21_52:
	s_or_b64 exec, exec, s[4:5]
	v_or_b32_e32 v8, 0x200, v0
	v_mov_b32_e32 v5, s26
	v_cmp_le_u32_e32 vcc, s33, v8
	s_mov_b64 s[2:3], -1
	v_mov_b32_e32 v6, s27
	s_and_saveexec_b64 s[4:5], vcc
; %bb.53:
	v_subrev_u32_e32 v8, s33, v8
	v_cmp_gt_u32_e32 vcc, s34, v8
	v_mov_b32_e32 v5, s28
	v_mov_b32_e32 v6, s29
	s_orn2_b64 s[2:3], vcc, exec
; %bb.54:
	s_or_b64 exec, exec, s[4:5]
	s_and_saveexec_b64 s[4:5], s[2:3]
	s_cbranch_execz .LBB21_56
; %bb.55:
	v_lshlrev_b64 v[5:6], 3, v[5:6]
	v_mov_b32_e32 v19, s17
	v_add_co_u32_e32 v5, vcc, s16, v5
	v_addc_co_u32_e32 v6, vcc, v19, v6, vcc
	v_lshlrev_b32_e32 v8, 3, v8
	v_add_co_u32_e32 v5, vcc, v5, v8
	v_addc_co_u32_e32 v6, vcc, 0, v6, vcc
	global_load_dwordx2 v[5:6], v[5:6], off
	s_waitcnt vmcnt(0)
	ds_write_b64 v7, v[5:6] offset:4096
.LBB21_56:
	s_or_b64 exec, exec, s[4:5]
	v_or_b32_e32 v8, 0x280, v0
	v_mov_b32_e32 v5, s26
	v_cmp_le_u32_e32 vcc, s33, v8
	s_mov_b64 s[2:3], -1
	v_mov_b32_e32 v6, s27
	s_and_saveexec_b64 s[4:5], vcc
; %bb.57:
	v_subrev_u32_e32 v8, s33, v8
	v_cmp_gt_u32_e32 vcc, s34, v8
	v_mov_b32_e32 v5, s28
	v_mov_b32_e32 v6, s29
	s_orn2_b64 s[2:3], vcc, exec
; %bb.58:
	s_or_b64 exec, exec, s[4:5]
	s_and_saveexec_b64 s[4:5], s[2:3]
	s_cbranch_execz .LBB21_60
; %bb.59:
	v_lshlrev_b64 v[5:6], 3, v[5:6]
	v_mov_b32_e32 v19, s17
	v_add_co_u32_e32 v5, vcc, s16, v5
	v_addc_co_u32_e32 v6, vcc, v19, v6, vcc
	v_lshlrev_b32_e32 v8, 3, v8
	v_add_co_u32_e32 v5, vcc, v5, v8
	v_addc_co_u32_e32 v6, vcc, 0, v6, vcc
	global_load_dwordx2 v[5:6], v[5:6], off
	s_waitcnt vmcnt(0)
	ds_write_b64 v7, v[5:6] offset:5120
.LBB21_60:
	s_or_b64 exec, exec, s[4:5]
	v_or_b32_e32 v7, 0x300, v0
	v_mov_b32_e32 v5, s26
	v_cmp_le_u32_e32 vcc, s33, v7
	s_mov_b64 s[2:3], -1
	v_mov_b32_e32 v6, s27
	s_and_saveexec_b64 s[4:5], vcc
; %bb.61:
	v_subrev_u32_e32 v7, s33, v7
	v_cmp_gt_u32_e32 vcc, s34, v7
	v_mov_b32_e32 v5, s28
	v_mov_b32_e32 v6, s29
	s_orn2_b64 s[2:3], vcc, exec
; %bb.62:
	s_or_b64 exec, exec, s[4:5]
	s_and_saveexec_b64 s[4:5], s[2:3]
	s_cbranch_execz .LBB21_64
; %bb.63:
	v_lshlrev_b64 v[5:6], 3, v[5:6]
	v_mov_b32_e32 v8, s17
	v_add_co_u32_e32 v5, vcc, s16, v5
	v_addc_co_u32_e32 v6, vcc, v8, v6, vcc
	v_lshlrev_b32_e32 v7, 3, v7
	v_add_co_u32_e32 v5, vcc, v5, v7
	v_addc_co_u32_e32 v6, vcc, 0, v6, vcc
	global_load_dwordx2 v[5:6], v[5:6], off
	s_waitcnt vmcnt(0)
	ds_write_b64 v10, v[5:6] offset:6144
.LBB21_64:
	s_or_b64 exec, exec, s[4:5]
	v_or_b32_e32 v19, 0x380, v0
	v_mov_b32_e32 v5, s8
	v_cmp_le_u32_e32 vcc, s33, v19
	s_mov_b64 s[4:5], -1
	v_mov_b32_e32 v6, s9
	v_mov_b32_e32 v7, v19
	s_and_saveexec_b64 s[2:3], vcc
; %bb.65:
	v_subrev_u32_e32 v7, s33, v19
	v_cmp_gt_u32_e32 vcc, s34, v7
	v_mov_b32_e32 v5, s6
	v_mov_b32_e32 v6, s7
	s_orn2_b64 s[4:5], vcc, exec
; %bb.66:
	s_or_b64 exec, exec, s[2:3]
.LBB21_67:
	s_and_saveexec_b64 s[2:3], s[4:5]
	s_cbranch_execz .LBB21_69
; %bb.68:
	v_mov_b32_e32 v8, 0
	v_lshlrev_b64 v[7:8], 3, v[7:8]
	v_add_co_u32_e32 v5, vcc, v5, v7
	v_addc_co_u32_e32 v6, vcc, v6, v8, vcc
	global_load_dwordx2 v[5:6], v[5:6], off
	v_lshlrev_b32_e32 v7, 3, v19
	s_waitcnt vmcnt(0)
	ds_write_b64 v7, v[5:6]
.LBB21_69:
	s_or_b64 exec, exec, s[2:3]
	s_and_b64 vcc, exec, s[0:1]
	v_add_u32_e32 v5, s22, v10
	s_waitcnt lgkmcnt(0)
	s_barrier
	s_cbranch_vccnz .LBB21_71
; %bb.70:
	v_lshlrev_b32_e32 v19, 3, v18
	v_lshlrev_b32_e32 v21, 3, v17
	;; [unrolled: 1-line block ×7, first 2 shown]
	v_mov_b32_e32 v6, 0
	ds_read_b64 v[19:20], v19
	ds_read_b64 v[21:22], v21
	;; [unrolled: 1-line block ×7, first 2 shown]
	v_lshlrev_b64 v[7:8], 3, v[5:6]
	v_mov_b32_e32 v33, s19
	v_add_co_u32_e32 v7, vcc, s18, v7
	v_addc_co_u32_e32 v8, vcc, v33, v8, vcc
	s_mov_b64 s[0:1], -1
	s_waitcnt lgkmcnt(5)
	global_store_dwordx4 v[7:8], v[19:22], off
	s_waitcnt lgkmcnt(3)
	global_store_dwordx4 v[7:8], v[23:26], off offset:16
	s_waitcnt lgkmcnt(1)
	global_store_dwordx4 v[7:8], v[27:30], off offset:32
	s_waitcnt lgkmcnt(0)
	global_store_dwordx2 v[7:8], v[31:32], off offset:48
	s_cbranch_execz .LBB21_72
	s_branch .LBB21_89
.LBB21_71:
	s_mov_b64 s[0:1], 0
.LBB21_72:
	v_cmp_gt_u32_e32 vcc, s21, v10
	s_and_saveexec_b64 s[2:3], vcc
	s_cbranch_execz .LBB21_74
; %bb.73:
	v_lshlrev_b32_e32 v8, 3, v18
	v_mov_b32_e32 v6, 0
	ds_read_b64 v[18:19], v8
	v_lshlrev_b64 v[6:7], 3, v[5:6]
	v_mov_b32_e32 v20, s19
	v_add_co_u32_e32 v6, vcc, s18, v6
	v_addc_co_u32_e32 v7, vcc, v20, v7, vcc
	s_waitcnt lgkmcnt(0)
	global_store_dwordx2 v[6:7], v[18:19], off
.LBB21_74:
	s_or_b64 exec, exec, s[2:3]
	v_or_b32_e32 v6, 1, v10
	v_cmp_gt_u32_e32 vcc, s21, v6
	s_and_saveexec_b64 s[2:3], vcc
	s_cbranch_execz .LBB21_76
; %bb.75:
	v_lshlrev_b32_e32 v8, 3, v17
	v_mov_b32_e32 v6, 0
	ds_read_b64 v[17:18], v8
	v_lshlrev_b64 v[6:7], 3, v[5:6]
	v_mov_b32_e32 v19, s19
	v_add_co_u32_e32 v6, vcc, s18, v6
	v_addc_co_u32_e32 v7, vcc, v19, v7, vcc
	s_waitcnt lgkmcnt(0)
	global_store_dwordx2 v[6:7], v[17:18], off offset:8
.LBB21_76:
	s_or_b64 exec, exec, s[2:3]
	v_or_b32_e32 v6, 2, v10
	v_cmp_gt_u32_e32 vcc, s21, v6
	s_and_saveexec_b64 s[2:3], vcc
	s_cbranch_execz .LBB21_78
; %bb.77:
	v_lshlrev_b32_e32 v8, 3, v16
	v_mov_b32_e32 v6, 0
	ds_read_b64 v[16:17], v8
	v_lshlrev_b64 v[6:7], 3, v[5:6]
	v_mov_b32_e32 v18, s19
	v_add_co_u32_e32 v6, vcc, s18, v6
	v_addc_co_u32_e32 v7, vcc, v18, v7, vcc
	s_waitcnt lgkmcnt(0)
	global_store_dwordx2 v[6:7], v[16:17], off offset:16
.LBB21_78:
	;; [unrolled: 16-line block ×6, first 2 shown]
	s_or_b64 exec, exec, s[2:3]
	v_or_b32_e32 v6, 7, v10
	v_cmp_gt_u32_e32 vcc, s21, v6
	s_and_saveexec_b64 s[2:3], vcc
; %bb.87:
	v_mov_b32_e32 v6, 0
	s_or_b64 s[0:1], s[0:1], exec
; %bb.88:
	s_or_b64 exec, exec, s[2:3]
.LBB21_89:
	s_and_saveexec_b64 s[2:3], s[0:1]
	s_cbranch_execz .LBB21_91
; %bb.90:
	v_lshlrev_b32_e32 v7, 3, v11
	ds_read_b64 v[7:8], v7
	v_lshlrev_b64 v[5:6], 3, v[5:6]
	v_mov_b32_e32 v11, s19
	v_add_co_u32_e32 v5, vcc, s18, v5
	v_addc_co_u32_e32 v6, vcc, v11, v6, vcc
	s_waitcnt lgkmcnt(0)
	global_store_dwordx2 v[5:6], v[7:8], off offset:56
.LBB21_91:
	s_or_b64 exec, exec, s[2:3]
	v_lshrrev_b32_e32 v5, 1, v0
	v_and_b32_e32 v5, 60, v5
	v_lshl_add_u32 v5, v10, 1, v5
	s_waitcnt vmcnt(0)
	s_barrier
	s_barrier
	ds_write2_b32 v5, v1, v2 offset1:1
	ds_write2_b32 v5, v3, v4 offset0:2 offset1:3
	v_lshrrev_b32_e32 v1, 4, v0
	v_and_b32_e32 v1, 4, v1
	v_or_b32_e32 v11, 0x80, v0
	v_add_u32_e32 v12, v1, v9
	v_lshrrev_b32_e32 v1, 4, v11
	v_and_b32_e32 v1, 12, v1
	v_or_b32_e32 v10, 0x100, v0
	v_add_u32_e32 v13, v1, v9
	v_lshrrev_b32_e32 v1, 4, v10
	v_and_b32_e32 v1, 20, v1
	v_or_b32_e32 v8, 0x180, v0
	v_add_u32_e32 v14, v1, v9
	v_lshrrev_b32_e32 v1, 4, v8
	v_and_b32_e32 v1, 28, v1
	v_or_b32_e32 v6, 0x200, v0
	v_add_u32_e32 v15, v1, v9
	v_lshrrev_b32_e32 v1, 4, v6
	v_and_b32_e32 v1, 36, v1
	v_or_b32_e32 v5, 0x280, v0
	v_add_u32_e32 v16, v1, v9
	v_lshrrev_b32_e32 v1, 4, v5
	v_and_b32_e32 v1, 44, v1
	v_or_b32_e32 v4, 0x300, v0
	s_mov_b32 s23, 0
	v_add_u32_e32 v17, v1, v9
	v_lshrrev_b32_e32 v1, 4, v4
	s_lshl_b64 s[0:1], s[22:23], 1
	v_and_b32_e32 v1, 52, v1
	v_or_b32_e32 v3, 0x380, v0
	s_add_u32 s0, s14, s0
	v_add_u32_e32 v18, v1, v9
	v_lshrrev_b32_e32 v1, 4, v3
	s_addc_u32 s1, s15, s1
	v_and_b32_e32 v1, 60, v1
	v_add_u32_e32 v19, v1, v9
	v_mov_b32_e32 v2, s1
	v_add_co_u32_e32 v1, vcc, s0, v9
	v_addc_co_u32_e32 v2, vcc, 0, v2, vcc
	s_and_b64 vcc, exec, s[24:25]
	s_waitcnt lgkmcnt(0)
	s_cbranch_vccz .LBB21_93
; %bb.92:
	s_barrier
	ds_read_u16 v9, v12
	ds_read_u16 v20, v13 offset:256
	ds_read_u16 v21, v14 offset:512
	;; [unrolled: 1-line block ×7, first 2 shown]
	s_waitcnt lgkmcnt(7)
	global_store_short v[1:2], v9, off
	s_waitcnt lgkmcnt(6)
	global_store_short v[1:2], v20, off offset:256
	s_waitcnt lgkmcnt(5)
	global_store_short v[1:2], v21, off offset:512
	;; [unrolled: 2-line block ×6, first 2 shown]
	s_mov_b64 s[0:1], -1
	s_cbranch_execz .LBB21_94
	s_branch .LBB21_103
.LBB21_93:
	s_mov_b64 s[0:1], 0
                                        ; implicit-def: $vgpr7
.LBB21_94:
	s_waitcnt vmcnt(0) lgkmcnt(0)
	s_barrier
	ds_read_u16 v21, v13 offset:256
	ds_read_u16 v20, v14 offset:512
	;; [unrolled: 1-line block ×7, first 2 shown]
	s_sub_i32 s2, s20, s22
	v_cmp_gt_u32_e32 vcc, s2, v0
	s_and_saveexec_b64 s[0:1], vcc
	s_cbranch_execnz .LBB21_106
; %bb.95:
	s_or_b64 exec, exec, s[0:1]
	v_cmp_gt_u32_e32 vcc, s2, v11
	s_and_saveexec_b64 s[0:1], vcc
	s_cbranch_execnz .LBB21_107
.LBB21_96:
	s_or_b64 exec, exec, s[0:1]
	v_cmp_gt_u32_e32 vcc, s2, v10
	s_and_saveexec_b64 s[0:1], vcc
	s_cbranch_execnz .LBB21_108
.LBB21_97:
	s_or_b64 exec, exec, s[0:1]
	v_cmp_gt_u32_e32 vcc, s2, v8
	s_and_saveexec_b64 s[0:1], vcc
	s_cbranch_execnz .LBB21_109
.LBB21_98:
	s_or_b64 exec, exec, s[0:1]
	v_cmp_gt_u32_e32 vcc, s2, v6
	s_and_saveexec_b64 s[0:1], vcc
	s_cbranch_execnz .LBB21_110
.LBB21_99:
	s_or_b64 exec, exec, s[0:1]
	v_cmp_gt_u32_e32 vcc, s2, v5
	s_and_saveexec_b64 s[0:1], vcc
	s_cbranch_execnz .LBB21_111
.LBB21_100:
	s_or_b64 exec, exec, s[0:1]
	v_cmp_gt_u32_e32 vcc, s2, v4
	s_and_saveexec_b64 s[0:1], vcc
	s_cbranch_execz .LBB21_102
.LBB21_101:
	s_waitcnt lgkmcnt(1)
	global_store_short v[1:2], v9, off offset:1536
.LBB21_102:
	s_or_b64 exec, exec, s[0:1]
	v_cmp_gt_u32_e64 s[0:1], s2, v3
.LBB21_103:
	s_and_saveexec_b64 s[2:3], s[0:1]
	s_cbranch_execz .LBB21_105
; %bb.104:
	s_waitcnt lgkmcnt(0)
	global_store_short v[1:2], v7, off offset:1792
.LBB21_105:
	s_endpgm
.LBB21_106:
	ds_read_u16 v0, v12
	s_waitcnt lgkmcnt(0)
	global_store_short v[1:2], v0, off
	s_or_b64 exec, exec, s[0:1]
	v_cmp_gt_u32_e32 vcc, s2, v11
	s_and_saveexec_b64 s[0:1], vcc
	s_cbranch_execz .LBB21_96
.LBB21_107:
	s_waitcnt lgkmcnt(6)
	global_store_short v[1:2], v21, off offset:256
	s_or_b64 exec, exec, s[0:1]
	v_cmp_gt_u32_e32 vcc, s2, v10
	s_and_saveexec_b64 s[0:1], vcc
	s_cbranch_execz .LBB21_97
.LBB21_108:
	s_waitcnt lgkmcnt(5)
	global_store_short v[1:2], v20, off offset:512
	s_or_b64 exec, exec, s[0:1]
	v_cmp_gt_u32_e32 vcc, s2, v8
	s_and_saveexec_b64 s[0:1], vcc
	s_cbranch_execz .LBB21_98
.LBB21_109:
	s_waitcnt lgkmcnt(4)
	global_store_short v[1:2], v15, off offset:768
	s_or_b64 exec, exec, s[0:1]
	v_cmp_gt_u32_e32 vcc, s2, v6
	s_and_saveexec_b64 s[0:1], vcc
	s_cbranch_execz .LBB21_99
.LBB21_110:
	s_waitcnt lgkmcnt(3)
	global_store_short v[1:2], v14, off offset:1024
	s_or_b64 exec, exec, s[0:1]
	v_cmp_gt_u32_e32 vcc, s2, v5
	s_and_saveexec_b64 s[0:1], vcc
	s_cbranch_execz .LBB21_100
.LBB21_111:
	s_waitcnt lgkmcnt(2)
	global_store_short v[1:2], v13, off offset:1280
	s_or_b64 exec, exec, s[0:1]
	v_cmp_gt_u32_e32 vcc, s2, v4
	s_and_saveexec_b64 s[0:1], vcc
	s_cbranch_execnz .LBB21_101
	s_branch .LBB21_102
	.section	.rodata,"a",@progbits
	.p2align	6, 0x0
	.amdhsa_kernel _ZN7rocprim17ROCPRIM_304000_NS6detail35device_block_merge_mergepath_kernelINS1_37wrapped_merge_sort_block_merge_configINS0_14default_configEtN2at4cuda3cub6detail10OpaqueTypeILi8EEEEEPtSC_PSA_SD_jNS1_19radix_merge_compareILb0ELb1EtNS0_19identity_decomposerEEEEEvT0_T1_T2_T3_T4_SL_jT5_PKSL_NS1_7vsmem_tE
		.amdhsa_group_segment_fixed_size 8208
		.amdhsa_private_segment_fixed_size 0
		.amdhsa_kernarg_size 320
		.amdhsa_user_sgpr_count 6
		.amdhsa_user_sgpr_private_segment_buffer 1
		.amdhsa_user_sgpr_dispatch_ptr 0
		.amdhsa_user_sgpr_queue_ptr 0
		.amdhsa_user_sgpr_kernarg_segment_ptr 1
		.amdhsa_user_sgpr_dispatch_id 0
		.amdhsa_user_sgpr_flat_scratch_init 0
		.amdhsa_user_sgpr_private_segment_size 0
		.amdhsa_uses_dynamic_stack 0
		.amdhsa_system_sgpr_private_segment_wavefront_offset 0
		.amdhsa_system_sgpr_workgroup_id_x 1
		.amdhsa_system_sgpr_workgroup_id_y 1
		.amdhsa_system_sgpr_workgroup_id_z 1
		.amdhsa_system_sgpr_workgroup_info 0
		.amdhsa_system_vgpr_workitem_id 0
		.amdhsa_next_free_vgpr 49
		.amdhsa_next_free_sgpr 98
		.amdhsa_reserve_vcc 1
		.amdhsa_reserve_flat_scratch 0
		.amdhsa_float_round_mode_32 0
		.amdhsa_float_round_mode_16_64 0
		.amdhsa_float_denorm_mode_32 3
		.amdhsa_float_denorm_mode_16_64 3
		.amdhsa_dx10_clamp 1
		.amdhsa_ieee_mode 1
		.amdhsa_fp16_overflow 0
		.amdhsa_exception_fp_ieee_invalid_op 0
		.amdhsa_exception_fp_denorm_src 0
		.amdhsa_exception_fp_ieee_div_zero 0
		.amdhsa_exception_fp_ieee_overflow 0
		.amdhsa_exception_fp_ieee_underflow 0
		.amdhsa_exception_fp_ieee_inexact 0
		.amdhsa_exception_int_div_zero 0
	.end_amdhsa_kernel
	.section	.text._ZN7rocprim17ROCPRIM_304000_NS6detail35device_block_merge_mergepath_kernelINS1_37wrapped_merge_sort_block_merge_configINS0_14default_configEtN2at4cuda3cub6detail10OpaqueTypeILi8EEEEEPtSC_PSA_SD_jNS1_19radix_merge_compareILb0ELb1EtNS0_19identity_decomposerEEEEEvT0_T1_T2_T3_T4_SL_jT5_PKSL_NS1_7vsmem_tE,"axG",@progbits,_ZN7rocprim17ROCPRIM_304000_NS6detail35device_block_merge_mergepath_kernelINS1_37wrapped_merge_sort_block_merge_configINS0_14default_configEtN2at4cuda3cub6detail10OpaqueTypeILi8EEEEEPtSC_PSA_SD_jNS1_19radix_merge_compareILb0ELb1EtNS0_19identity_decomposerEEEEEvT0_T1_T2_T3_T4_SL_jT5_PKSL_NS1_7vsmem_tE,comdat
.Lfunc_end21:
	.size	_ZN7rocprim17ROCPRIM_304000_NS6detail35device_block_merge_mergepath_kernelINS1_37wrapped_merge_sort_block_merge_configINS0_14default_configEtN2at4cuda3cub6detail10OpaqueTypeILi8EEEEEPtSC_PSA_SD_jNS1_19radix_merge_compareILb0ELb1EtNS0_19identity_decomposerEEEEEvT0_T1_T2_T3_T4_SL_jT5_PKSL_NS1_7vsmem_tE, .Lfunc_end21-_ZN7rocprim17ROCPRIM_304000_NS6detail35device_block_merge_mergepath_kernelINS1_37wrapped_merge_sort_block_merge_configINS0_14default_configEtN2at4cuda3cub6detail10OpaqueTypeILi8EEEEEPtSC_PSA_SD_jNS1_19radix_merge_compareILb0ELb1EtNS0_19identity_decomposerEEEEEvT0_T1_T2_T3_T4_SL_jT5_PKSL_NS1_7vsmem_tE
                                        ; -- End function
	.set _ZN7rocprim17ROCPRIM_304000_NS6detail35device_block_merge_mergepath_kernelINS1_37wrapped_merge_sort_block_merge_configINS0_14default_configEtN2at4cuda3cub6detail10OpaqueTypeILi8EEEEEPtSC_PSA_SD_jNS1_19radix_merge_compareILb0ELb1EtNS0_19identity_decomposerEEEEEvT0_T1_T2_T3_T4_SL_jT5_PKSL_NS1_7vsmem_tE.num_vgpr, 34
	.set _ZN7rocprim17ROCPRIM_304000_NS6detail35device_block_merge_mergepath_kernelINS1_37wrapped_merge_sort_block_merge_configINS0_14default_configEtN2at4cuda3cub6detail10OpaqueTypeILi8EEEEEPtSC_PSA_SD_jNS1_19radix_merge_compareILb0ELb1EtNS0_19identity_decomposerEEEEEvT0_T1_T2_T3_T4_SL_jT5_PKSL_NS1_7vsmem_tE.num_agpr, 0
	.set _ZN7rocprim17ROCPRIM_304000_NS6detail35device_block_merge_mergepath_kernelINS1_37wrapped_merge_sort_block_merge_configINS0_14default_configEtN2at4cuda3cub6detail10OpaqueTypeILi8EEEEEPtSC_PSA_SD_jNS1_19radix_merge_compareILb0ELb1EtNS0_19identity_decomposerEEEEEvT0_T1_T2_T3_T4_SL_jT5_PKSL_NS1_7vsmem_tE.numbered_sgpr, 35
	.set _ZN7rocprim17ROCPRIM_304000_NS6detail35device_block_merge_mergepath_kernelINS1_37wrapped_merge_sort_block_merge_configINS0_14default_configEtN2at4cuda3cub6detail10OpaqueTypeILi8EEEEEPtSC_PSA_SD_jNS1_19radix_merge_compareILb0ELb1EtNS0_19identity_decomposerEEEEEvT0_T1_T2_T3_T4_SL_jT5_PKSL_NS1_7vsmem_tE.num_named_barrier, 0
	.set _ZN7rocprim17ROCPRIM_304000_NS6detail35device_block_merge_mergepath_kernelINS1_37wrapped_merge_sort_block_merge_configINS0_14default_configEtN2at4cuda3cub6detail10OpaqueTypeILi8EEEEEPtSC_PSA_SD_jNS1_19radix_merge_compareILb0ELb1EtNS0_19identity_decomposerEEEEEvT0_T1_T2_T3_T4_SL_jT5_PKSL_NS1_7vsmem_tE.private_seg_size, 0
	.set _ZN7rocprim17ROCPRIM_304000_NS6detail35device_block_merge_mergepath_kernelINS1_37wrapped_merge_sort_block_merge_configINS0_14default_configEtN2at4cuda3cub6detail10OpaqueTypeILi8EEEEEPtSC_PSA_SD_jNS1_19radix_merge_compareILb0ELb1EtNS0_19identity_decomposerEEEEEvT0_T1_T2_T3_T4_SL_jT5_PKSL_NS1_7vsmem_tE.uses_vcc, 1
	.set _ZN7rocprim17ROCPRIM_304000_NS6detail35device_block_merge_mergepath_kernelINS1_37wrapped_merge_sort_block_merge_configINS0_14default_configEtN2at4cuda3cub6detail10OpaqueTypeILi8EEEEEPtSC_PSA_SD_jNS1_19radix_merge_compareILb0ELb1EtNS0_19identity_decomposerEEEEEvT0_T1_T2_T3_T4_SL_jT5_PKSL_NS1_7vsmem_tE.uses_flat_scratch, 0
	.set _ZN7rocprim17ROCPRIM_304000_NS6detail35device_block_merge_mergepath_kernelINS1_37wrapped_merge_sort_block_merge_configINS0_14default_configEtN2at4cuda3cub6detail10OpaqueTypeILi8EEEEEPtSC_PSA_SD_jNS1_19radix_merge_compareILb0ELb1EtNS0_19identity_decomposerEEEEEvT0_T1_T2_T3_T4_SL_jT5_PKSL_NS1_7vsmem_tE.has_dyn_sized_stack, 0
	.set _ZN7rocprim17ROCPRIM_304000_NS6detail35device_block_merge_mergepath_kernelINS1_37wrapped_merge_sort_block_merge_configINS0_14default_configEtN2at4cuda3cub6detail10OpaqueTypeILi8EEEEEPtSC_PSA_SD_jNS1_19radix_merge_compareILb0ELb1EtNS0_19identity_decomposerEEEEEvT0_T1_T2_T3_T4_SL_jT5_PKSL_NS1_7vsmem_tE.has_recursion, 0
	.set _ZN7rocprim17ROCPRIM_304000_NS6detail35device_block_merge_mergepath_kernelINS1_37wrapped_merge_sort_block_merge_configINS0_14default_configEtN2at4cuda3cub6detail10OpaqueTypeILi8EEEEEPtSC_PSA_SD_jNS1_19radix_merge_compareILb0ELb1EtNS0_19identity_decomposerEEEEEvT0_T1_T2_T3_T4_SL_jT5_PKSL_NS1_7vsmem_tE.has_indirect_call, 0
	.section	.AMDGPU.csdata,"",@progbits
; Kernel info:
; codeLenInByte = 6168
; TotalNumSgprs: 39
; NumVgprs: 34
; ScratchSize: 0
; MemoryBound: 0
; FloatMode: 240
; IeeeMode: 1
; LDSByteSize: 8208 bytes/workgroup (compile time only)
; SGPRBlocks: 12
; VGPRBlocks: 12
; NumSGPRsForWavesPerEU: 102
; NumVGPRsForWavesPerEU: 49
; Occupancy: 4
; WaveLimiterHint : 1
; COMPUTE_PGM_RSRC2:SCRATCH_EN: 0
; COMPUTE_PGM_RSRC2:USER_SGPR: 6
; COMPUTE_PGM_RSRC2:TRAP_HANDLER: 0
; COMPUTE_PGM_RSRC2:TGID_X_EN: 1
; COMPUTE_PGM_RSRC2:TGID_Y_EN: 1
; COMPUTE_PGM_RSRC2:TGID_Z_EN: 1
; COMPUTE_PGM_RSRC2:TIDIG_COMP_CNT: 0
	.section	.text._ZN7rocprim17ROCPRIM_304000_NS6detail33device_block_merge_oddeven_kernelINS1_37wrapped_merge_sort_block_merge_configINS0_14default_configEtN2at4cuda3cub6detail10OpaqueTypeILi8EEEEEPtSC_PSA_SD_jNS1_19radix_merge_compareILb0ELb1EtNS0_19identity_decomposerEEEEEvT0_T1_T2_T3_T4_SL_T5_,"axG",@progbits,_ZN7rocprim17ROCPRIM_304000_NS6detail33device_block_merge_oddeven_kernelINS1_37wrapped_merge_sort_block_merge_configINS0_14default_configEtN2at4cuda3cub6detail10OpaqueTypeILi8EEEEEPtSC_PSA_SD_jNS1_19radix_merge_compareILb0ELb1EtNS0_19identity_decomposerEEEEEvT0_T1_T2_T3_T4_SL_T5_,comdat
	.protected	_ZN7rocprim17ROCPRIM_304000_NS6detail33device_block_merge_oddeven_kernelINS1_37wrapped_merge_sort_block_merge_configINS0_14default_configEtN2at4cuda3cub6detail10OpaqueTypeILi8EEEEEPtSC_PSA_SD_jNS1_19radix_merge_compareILb0ELb1EtNS0_19identity_decomposerEEEEEvT0_T1_T2_T3_T4_SL_T5_ ; -- Begin function _ZN7rocprim17ROCPRIM_304000_NS6detail33device_block_merge_oddeven_kernelINS1_37wrapped_merge_sort_block_merge_configINS0_14default_configEtN2at4cuda3cub6detail10OpaqueTypeILi8EEEEEPtSC_PSA_SD_jNS1_19radix_merge_compareILb0ELb1EtNS0_19identity_decomposerEEEEEvT0_T1_T2_T3_T4_SL_T5_
	.globl	_ZN7rocprim17ROCPRIM_304000_NS6detail33device_block_merge_oddeven_kernelINS1_37wrapped_merge_sort_block_merge_configINS0_14default_configEtN2at4cuda3cub6detail10OpaqueTypeILi8EEEEEPtSC_PSA_SD_jNS1_19radix_merge_compareILb0ELb1EtNS0_19identity_decomposerEEEEEvT0_T1_T2_T3_T4_SL_T5_
	.p2align	8
	.type	_ZN7rocprim17ROCPRIM_304000_NS6detail33device_block_merge_oddeven_kernelINS1_37wrapped_merge_sort_block_merge_configINS0_14default_configEtN2at4cuda3cub6detail10OpaqueTypeILi8EEEEEPtSC_PSA_SD_jNS1_19radix_merge_compareILb0ELb1EtNS0_19identity_decomposerEEEEEvT0_T1_T2_T3_T4_SL_T5_,@function
_ZN7rocprim17ROCPRIM_304000_NS6detail33device_block_merge_oddeven_kernelINS1_37wrapped_merge_sort_block_merge_configINS0_14default_configEtN2at4cuda3cub6detail10OpaqueTypeILi8EEEEEPtSC_PSA_SD_jNS1_19radix_merge_compareILb0ELb1EtNS0_19identity_decomposerEEEEEvT0_T1_T2_T3_T4_SL_T5_: ; @_ZN7rocprim17ROCPRIM_304000_NS6detail33device_block_merge_oddeven_kernelINS1_37wrapped_merge_sort_block_merge_configINS0_14default_configEtN2at4cuda3cub6detail10OpaqueTypeILi8EEEEEPtSC_PSA_SD_jNS1_19radix_merge_compareILb0ELb1EtNS0_19identity_decomposerEEEEEvT0_T1_T2_T3_T4_SL_T5_
; %bb.0:
	s_load_dwordx4 s[16:19], s[4:5], 0x20
	s_waitcnt lgkmcnt(0)
	s_lshr_b32 s0, s16, 8
	s_cmp_eq_u32 s6, s0
	s_cselect_b64 s[20:21], -1, 0
	s_cmp_lg_u32 s6, s0
	s_cselect_b64 s[0:1], -1, 0
	s_lshl_b32 s22, s6, 8
	s_sub_i32 s2, s16, s22
	v_cmp_gt_u32_e64 s[2:3], s2, v0
	s_or_b64 s[0:1], s[0:1], s[2:3]
	s_and_saveexec_b64 s[8:9], s[0:1]
	s_cbranch_execz .LBB22_24
; %bb.1:
	s_load_dwordx8 s[8:15], s[4:5], 0x0
	s_mov_b32 s23, 0
	s_lshl_b64 s[0:1], s[22:23], 1
	v_lshlrev_b32_e32 v4, 3, v0
	v_lshlrev_b32_e32 v3, 1, v0
	s_waitcnt lgkmcnt(0)
	s_add_u32 s0, s8, s0
	s_addc_u32 s1, s9, s1
	s_lshl_b64 s[4:5], s[22:23], 3
	s_add_u32 s4, s12, s4
	s_addc_u32 s5, s13, s5
	global_load_dwordx2 v[1:2], v4, s[4:5]
	global_load_ushort v5, v3, s[0:1]
	s_lshr_b32 s0, s17, 8
	s_sub_i32 s1, 0, s0
	s_and_b32 s1, s6, s1
	s_and_b32 s0, s1, s0
	s_lshl_b32 s13, s1, 8
	s_sub_i32 s6, 0, s17
	s_cmp_eq_u32 s0, 0
	s_cselect_b64 s[0:1], -1, 0
	s_and_b64 s[4:5], s[0:1], exec
	s_cselect_b32 s6, s17, s6
	s_add_i32 s6, s6, s13
	s_mov_b64 s[4:5], -1
	s_cmp_gt_u32 s16, s6
	v_add_u32_e32 v3, s22, v0
	s_cbranch_scc1 .LBB22_9
; %bb.2:
	s_and_b64 vcc, exec, s[20:21]
	s_cbranch_vccz .LBB22_6
; %bb.3:
	v_cmp_gt_u32_e32 vcc, s16, v3
	s_and_saveexec_b64 s[4:5], vcc
	s_cbranch_execz .LBB22_5
; %bb.4:
	v_mov_b32_e32 v4, 0
	v_lshlrev_b64 v[6:7], 3, v[3:4]
	v_mov_b32_e32 v0, s15
	v_add_co_u32_e32 v6, vcc, s14, v6
	v_lshlrev_b64 v[8:9], 1, v[3:4]
	v_addc_co_u32_e32 v7, vcc, v0, v7, vcc
	v_mov_b32_e32 v0, s11
	v_add_co_u32_e32 v8, vcc, s10, v8
	v_addc_co_u32_e32 v9, vcc, v0, v9, vcc
	s_waitcnt vmcnt(0)
	global_store_short v[8:9], v5, off
	global_store_dwordx2 v[6:7], v[1:2], off
.LBB22_5:
	s_or_b64 exec, exec, s[4:5]
	s_mov_b64 s[4:5], 0
.LBB22_6:
	s_andn2_b64 vcc, exec, s[4:5]
	s_cbranch_vccnz .LBB22_8
; %bb.7:
	v_mov_b32_e32 v4, 0
	v_lshlrev_b64 v[6:7], 1, v[3:4]
	v_mov_b32_e32 v0, s11
	v_add_co_u32_e32 v6, vcc, s10, v6
	v_lshlrev_b64 v[8:9], 3, v[3:4]
	v_addc_co_u32_e32 v7, vcc, v0, v7, vcc
	v_mov_b32_e32 v0, s15
	v_add_co_u32_e32 v8, vcc, s14, v8
	v_addc_co_u32_e32 v9, vcc, v0, v9, vcc
	s_waitcnt vmcnt(0)
	global_store_short v[6:7], v5, off
	global_store_dwordx2 v[8:9], v[1:2], off
.LBB22_8:
	s_mov_b64 s[4:5], 0
.LBB22_9:
	s_andn2_b64 vcc, exec, s[4:5]
	s_cbranch_vccnz .LBB22_24
; %bb.10:
	s_min_u32 s7, s6, s16
	s_add_i32 s4, s7, s17
	s_min_u32 s12, s4, s16
	s_min_u32 s4, s13, s7
	s_add_i32 s13, s13, s7
	v_subrev_u32_e32 v0, s13, v3
	v_add_u32_e32 v0, s4, v0
	s_waitcnt vmcnt(0)
	v_and_b32_e32 v3, s18, v5
	s_mov_b64 s[4:5], -1
	s_and_b64 vcc, exec, s[20:21]
	s_cbranch_vccz .LBB22_18
; %bb.11:
	s_and_saveexec_b64 s[4:5], s[2:3]
	s_cbranch_execz .LBB22_17
; %bb.12:
	s_cmp_ge_u32 s6, s12
	v_mov_b32_e32 v4, s7
	s_cbranch_scc1 .LBB22_16
; %bb.13:
	s_mov_b64 s[2:3], 0
	v_mov_b32_e32 v6, s12
	v_mov_b32_e32 v4, s7
.LBB22_14:                              ; =>This Inner Loop Header: Depth=1
	v_add_u32_e32 v7, v4, v6
	v_and_b32_e32 v8, -2, v7
	global_load_ushort v8, v8, s[8:9]
	v_lshrrev_b32_e32 v7, 1, v7
	v_add_u32_e32 v9, 1, v7
	s_waitcnt vmcnt(0)
	v_and_b32_e32 v8, s18, v8
	v_cmp_gt_u16_e32 vcc, v3, v8
	v_cndmask_b32_e64 v10, 0, 1, vcc
	v_cmp_le_u16_e32 vcc, v8, v3
	v_cndmask_b32_e64 v8, 0, 1, vcc
	v_cndmask_b32_e64 v8, v8, v10, s[0:1]
	v_and_b32_e32 v8, 1, v8
	v_cmp_eq_u32_e32 vcc, 1, v8
	v_cndmask_b32_e32 v6, v7, v6, vcc
	v_cndmask_b32_e32 v4, v4, v9, vcc
	v_cmp_ge_u32_e32 vcc, v4, v6
	s_or_b64 s[2:3], vcc, s[2:3]
	s_andn2_b64 exec, exec, s[2:3]
	s_cbranch_execnz .LBB22_14
; %bb.15:
	s_or_b64 exec, exec, s[2:3]
.LBB22_16:
	v_add_u32_e32 v6, v4, v0
	v_mov_b32_e32 v7, 0
	v_lshlrev_b64 v[8:9], 1, v[6:7]
	v_mov_b32_e32 v4, s11
	v_add_co_u32_e32 v8, vcc, s10, v8
	v_lshlrev_b64 v[6:7], 3, v[6:7]
	v_addc_co_u32_e32 v9, vcc, v4, v9, vcc
	v_mov_b32_e32 v4, s15
	v_add_co_u32_e32 v6, vcc, s14, v6
	v_addc_co_u32_e32 v7, vcc, v4, v7, vcc
	global_store_short v[8:9], v5, off
	global_store_dwordx2 v[6:7], v[1:2], off
.LBB22_17:
	s_or_b64 exec, exec, s[4:5]
	s_mov_b64 s[4:5], 0
.LBB22_18:
	s_andn2_b64 vcc, exec, s[4:5]
	s_cbranch_vccnz .LBB22_24
; %bb.19:
	s_cmp_ge_u32 s6, s12
	v_mov_b32_e32 v4, s7
	s_cbranch_scc1 .LBB22_23
; %bb.20:
	s_mov_b64 s[2:3], 0
	v_mov_b32_e32 v6, s12
	v_mov_b32_e32 v4, s7
.LBB22_21:                              ; =>This Inner Loop Header: Depth=1
	v_add_u32_e32 v7, v4, v6
	v_and_b32_e32 v8, -2, v7
	global_load_ushort v8, v8, s[8:9]
	v_lshrrev_b32_e32 v7, 1, v7
	v_add_u32_e32 v9, 1, v7
	s_waitcnt vmcnt(0)
	v_and_b32_e32 v8, s18, v8
	v_cmp_gt_u16_e32 vcc, v3, v8
	v_cndmask_b32_e64 v10, 0, 1, vcc
	v_cmp_le_u16_e32 vcc, v8, v3
	v_cndmask_b32_e64 v8, 0, 1, vcc
	v_cndmask_b32_e64 v8, v8, v10, s[0:1]
	v_and_b32_e32 v8, 1, v8
	v_cmp_eq_u32_e32 vcc, 1, v8
	v_cndmask_b32_e32 v6, v7, v6, vcc
	v_cndmask_b32_e32 v4, v4, v9, vcc
	v_cmp_ge_u32_e32 vcc, v4, v6
	s_or_b64 s[2:3], vcc, s[2:3]
	s_andn2_b64 exec, exec, s[2:3]
	s_cbranch_execnz .LBB22_21
; %bb.22:
	s_or_b64 exec, exec, s[2:3]
.LBB22_23:
	v_add_u32_e32 v3, v4, v0
	v_mov_b32_e32 v4, 0
	v_lshlrev_b64 v[6:7], 1, v[3:4]
	v_mov_b32_e32 v0, s11
	v_add_co_u32_e32 v6, vcc, s10, v6
	v_lshlrev_b64 v[3:4], 3, v[3:4]
	v_addc_co_u32_e32 v7, vcc, v0, v7, vcc
	v_mov_b32_e32 v0, s15
	v_add_co_u32_e32 v3, vcc, s14, v3
	v_addc_co_u32_e32 v4, vcc, v0, v4, vcc
	global_store_short v[6:7], v5, off
	global_store_dwordx2 v[3:4], v[1:2], off
.LBB22_24:
	s_endpgm
	.section	.rodata,"a",@progbits
	.p2align	6, 0x0
	.amdhsa_kernel _ZN7rocprim17ROCPRIM_304000_NS6detail33device_block_merge_oddeven_kernelINS1_37wrapped_merge_sort_block_merge_configINS0_14default_configEtN2at4cuda3cub6detail10OpaqueTypeILi8EEEEEPtSC_PSA_SD_jNS1_19radix_merge_compareILb0ELb1EtNS0_19identity_decomposerEEEEEvT0_T1_T2_T3_T4_SL_T5_
		.amdhsa_group_segment_fixed_size 0
		.amdhsa_private_segment_fixed_size 0
		.amdhsa_kernarg_size 44
		.amdhsa_user_sgpr_count 6
		.amdhsa_user_sgpr_private_segment_buffer 1
		.amdhsa_user_sgpr_dispatch_ptr 0
		.amdhsa_user_sgpr_queue_ptr 0
		.amdhsa_user_sgpr_kernarg_segment_ptr 1
		.amdhsa_user_sgpr_dispatch_id 0
		.amdhsa_user_sgpr_flat_scratch_init 0
		.amdhsa_user_sgpr_private_segment_size 0
		.amdhsa_uses_dynamic_stack 0
		.amdhsa_system_sgpr_private_segment_wavefront_offset 0
		.amdhsa_system_sgpr_workgroup_id_x 1
		.amdhsa_system_sgpr_workgroup_id_y 0
		.amdhsa_system_sgpr_workgroup_id_z 0
		.amdhsa_system_sgpr_workgroup_info 0
		.amdhsa_system_vgpr_workitem_id 0
		.amdhsa_next_free_vgpr 11
		.amdhsa_next_free_sgpr 24
		.amdhsa_reserve_vcc 1
		.amdhsa_reserve_flat_scratch 0
		.amdhsa_float_round_mode_32 0
		.amdhsa_float_round_mode_16_64 0
		.amdhsa_float_denorm_mode_32 3
		.amdhsa_float_denorm_mode_16_64 3
		.amdhsa_dx10_clamp 1
		.amdhsa_ieee_mode 1
		.amdhsa_fp16_overflow 0
		.amdhsa_exception_fp_ieee_invalid_op 0
		.amdhsa_exception_fp_denorm_src 0
		.amdhsa_exception_fp_ieee_div_zero 0
		.amdhsa_exception_fp_ieee_overflow 0
		.amdhsa_exception_fp_ieee_underflow 0
		.amdhsa_exception_fp_ieee_inexact 0
		.amdhsa_exception_int_div_zero 0
	.end_amdhsa_kernel
	.section	.text._ZN7rocprim17ROCPRIM_304000_NS6detail33device_block_merge_oddeven_kernelINS1_37wrapped_merge_sort_block_merge_configINS0_14default_configEtN2at4cuda3cub6detail10OpaqueTypeILi8EEEEEPtSC_PSA_SD_jNS1_19radix_merge_compareILb0ELb1EtNS0_19identity_decomposerEEEEEvT0_T1_T2_T3_T4_SL_T5_,"axG",@progbits,_ZN7rocprim17ROCPRIM_304000_NS6detail33device_block_merge_oddeven_kernelINS1_37wrapped_merge_sort_block_merge_configINS0_14default_configEtN2at4cuda3cub6detail10OpaqueTypeILi8EEEEEPtSC_PSA_SD_jNS1_19radix_merge_compareILb0ELb1EtNS0_19identity_decomposerEEEEEvT0_T1_T2_T3_T4_SL_T5_,comdat
.Lfunc_end22:
	.size	_ZN7rocprim17ROCPRIM_304000_NS6detail33device_block_merge_oddeven_kernelINS1_37wrapped_merge_sort_block_merge_configINS0_14default_configEtN2at4cuda3cub6detail10OpaqueTypeILi8EEEEEPtSC_PSA_SD_jNS1_19radix_merge_compareILb0ELb1EtNS0_19identity_decomposerEEEEEvT0_T1_T2_T3_T4_SL_T5_, .Lfunc_end22-_ZN7rocprim17ROCPRIM_304000_NS6detail33device_block_merge_oddeven_kernelINS1_37wrapped_merge_sort_block_merge_configINS0_14default_configEtN2at4cuda3cub6detail10OpaqueTypeILi8EEEEEPtSC_PSA_SD_jNS1_19radix_merge_compareILb0ELb1EtNS0_19identity_decomposerEEEEEvT0_T1_T2_T3_T4_SL_T5_
                                        ; -- End function
	.set _ZN7rocprim17ROCPRIM_304000_NS6detail33device_block_merge_oddeven_kernelINS1_37wrapped_merge_sort_block_merge_configINS0_14default_configEtN2at4cuda3cub6detail10OpaqueTypeILi8EEEEEPtSC_PSA_SD_jNS1_19radix_merge_compareILb0ELb1EtNS0_19identity_decomposerEEEEEvT0_T1_T2_T3_T4_SL_T5_.num_vgpr, 11
	.set _ZN7rocprim17ROCPRIM_304000_NS6detail33device_block_merge_oddeven_kernelINS1_37wrapped_merge_sort_block_merge_configINS0_14default_configEtN2at4cuda3cub6detail10OpaqueTypeILi8EEEEEPtSC_PSA_SD_jNS1_19radix_merge_compareILb0ELb1EtNS0_19identity_decomposerEEEEEvT0_T1_T2_T3_T4_SL_T5_.num_agpr, 0
	.set _ZN7rocprim17ROCPRIM_304000_NS6detail33device_block_merge_oddeven_kernelINS1_37wrapped_merge_sort_block_merge_configINS0_14default_configEtN2at4cuda3cub6detail10OpaqueTypeILi8EEEEEPtSC_PSA_SD_jNS1_19radix_merge_compareILb0ELb1EtNS0_19identity_decomposerEEEEEvT0_T1_T2_T3_T4_SL_T5_.numbered_sgpr, 24
	.set _ZN7rocprim17ROCPRIM_304000_NS6detail33device_block_merge_oddeven_kernelINS1_37wrapped_merge_sort_block_merge_configINS0_14default_configEtN2at4cuda3cub6detail10OpaqueTypeILi8EEEEEPtSC_PSA_SD_jNS1_19radix_merge_compareILb0ELb1EtNS0_19identity_decomposerEEEEEvT0_T1_T2_T3_T4_SL_T5_.num_named_barrier, 0
	.set _ZN7rocprim17ROCPRIM_304000_NS6detail33device_block_merge_oddeven_kernelINS1_37wrapped_merge_sort_block_merge_configINS0_14default_configEtN2at4cuda3cub6detail10OpaqueTypeILi8EEEEEPtSC_PSA_SD_jNS1_19radix_merge_compareILb0ELb1EtNS0_19identity_decomposerEEEEEvT0_T1_T2_T3_T4_SL_T5_.private_seg_size, 0
	.set _ZN7rocprim17ROCPRIM_304000_NS6detail33device_block_merge_oddeven_kernelINS1_37wrapped_merge_sort_block_merge_configINS0_14default_configEtN2at4cuda3cub6detail10OpaqueTypeILi8EEEEEPtSC_PSA_SD_jNS1_19radix_merge_compareILb0ELb1EtNS0_19identity_decomposerEEEEEvT0_T1_T2_T3_T4_SL_T5_.uses_vcc, 1
	.set _ZN7rocprim17ROCPRIM_304000_NS6detail33device_block_merge_oddeven_kernelINS1_37wrapped_merge_sort_block_merge_configINS0_14default_configEtN2at4cuda3cub6detail10OpaqueTypeILi8EEEEEPtSC_PSA_SD_jNS1_19radix_merge_compareILb0ELb1EtNS0_19identity_decomposerEEEEEvT0_T1_T2_T3_T4_SL_T5_.uses_flat_scratch, 0
	.set _ZN7rocprim17ROCPRIM_304000_NS6detail33device_block_merge_oddeven_kernelINS1_37wrapped_merge_sort_block_merge_configINS0_14default_configEtN2at4cuda3cub6detail10OpaqueTypeILi8EEEEEPtSC_PSA_SD_jNS1_19radix_merge_compareILb0ELb1EtNS0_19identity_decomposerEEEEEvT0_T1_T2_T3_T4_SL_T5_.has_dyn_sized_stack, 0
	.set _ZN7rocprim17ROCPRIM_304000_NS6detail33device_block_merge_oddeven_kernelINS1_37wrapped_merge_sort_block_merge_configINS0_14default_configEtN2at4cuda3cub6detail10OpaqueTypeILi8EEEEEPtSC_PSA_SD_jNS1_19radix_merge_compareILb0ELb1EtNS0_19identity_decomposerEEEEEvT0_T1_T2_T3_T4_SL_T5_.has_recursion, 0
	.set _ZN7rocprim17ROCPRIM_304000_NS6detail33device_block_merge_oddeven_kernelINS1_37wrapped_merge_sort_block_merge_configINS0_14default_configEtN2at4cuda3cub6detail10OpaqueTypeILi8EEEEEPtSC_PSA_SD_jNS1_19radix_merge_compareILb0ELb1EtNS0_19identity_decomposerEEEEEvT0_T1_T2_T3_T4_SL_T5_.has_indirect_call, 0
	.section	.AMDGPU.csdata,"",@progbits
; Kernel info:
; codeLenInByte = 812
; TotalNumSgprs: 28
; NumVgprs: 11
; ScratchSize: 0
; MemoryBound: 0
; FloatMode: 240
; IeeeMode: 1
; LDSByteSize: 0 bytes/workgroup (compile time only)
; SGPRBlocks: 3
; VGPRBlocks: 2
; NumSGPRsForWavesPerEU: 28
; NumVGPRsForWavesPerEU: 11
; Occupancy: 10
; WaveLimiterHint : 0
; COMPUTE_PGM_RSRC2:SCRATCH_EN: 0
; COMPUTE_PGM_RSRC2:USER_SGPR: 6
; COMPUTE_PGM_RSRC2:TRAP_HANDLER: 0
; COMPUTE_PGM_RSRC2:TGID_X_EN: 1
; COMPUTE_PGM_RSRC2:TGID_Y_EN: 0
; COMPUTE_PGM_RSRC2:TGID_Z_EN: 0
; COMPUTE_PGM_RSRC2:TIDIG_COMP_CNT: 0
	.section	.text._ZN7rocprim17ROCPRIM_304000_NS6detail26onesweep_histograms_kernelINS1_34wrapped_radix_sort_onesweep_configINS0_14default_configEtN2at4cuda3cub6detail10OpaqueTypeILi8EEEEELb0EPKtmNS0_19identity_decomposerEEEvT1_PT2_SG_SG_T3_jj,"axG",@progbits,_ZN7rocprim17ROCPRIM_304000_NS6detail26onesweep_histograms_kernelINS1_34wrapped_radix_sort_onesweep_configINS0_14default_configEtN2at4cuda3cub6detail10OpaqueTypeILi8EEEEELb0EPKtmNS0_19identity_decomposerEEEvT1_PT2_SG_SG_T3_jj,comdat
	.protected	_ZN7rocprim17ROCPRIM_304000_NS6detail26onesweep_histograms_kernelINS1_34wrapped_radix_sort_onesweep_configINS0_14default_configEtN2at4cuda3cub6detail10OpaqueTypeILi8EEEEELb0EPKtmNS0_19identity_decomposerEEEvT1_PT2_SG_SG_T3_jj ; -- Begin function _ZN7rocprim17ROCPRIM_304000_NS6detail26onesweep_histograms_kernelINS1_34wrapped_radix_sort_onesweep_configINS0_14default_configEtN2at4cuda3cub6detail10OpaqueTypeILi8EEEEELb0EPKtmNS0_19identity_decomposerEEEvT1_PT2_SG_SG_T3_jj
	.globl	_ZN7rocprim17ROCPRIM_304000_NS6detail26onesweep_histograms_kernelINS1_34wrapped_radix_sort_onesweep_configINS0_14default_configEtN2at4cuda3cub6detail10OpaqueTypeILi8EEEEELb0EPKtmNS0_19identity_decomposerEEEvT1_PT2_SG_SG_T3_jj
	.p2align	8
	.type	_ZN7rocprim17ROCPRIM_304000_NS6detail26onesweep_histograms_kernelINS1_34wrapped_radix_sort_onesweep_configINS0_14default_configEtN2at4cuda3cub6detail10OpaqueTypeILi8EEEEELb0EPKtmNS0_19identity_decomposerEEEvT1_PT2_SG_SG_T3_jj,@function
_ZN7rocprim17ROCPRIM_304000_NS6detail26onesweep_histograms_kernelINS1_34wrapped_radix_sort_onesweep_configINS0_14default_configEtN2at4cuda3cub6detail10OpaqueTypeILi8EEEEELb0EPKtmNS0_19identity_decomposerEEEvT1_PT2_SG_SG_T3_jj: ; @_ZN7rocprim17ROCPRIM_304000_NS6detail26onesweep_histograms_kernelINS1_34wrapped_radix_sort_onesweep_configINS0_14default_configEtN2at4cuda3cub6detail10OpaqueTypeILi8EEEEELb0EPKtmNS0_19identity_decomposerEEEvT1_PT2_SG_SG_T3_jj
; %bb.0:
	s_load_dwordx8 s[24:31], s[4:5], 0x0
	s_load_dwordx2 s[34:35], s[4:5], 0x24
	v_mov_b32_e32 v1, s6
	v_mov_b32_e32 v2, 0
	s_mul_hi_u32 s0, s6, 0x1800
	s_waitcnt lgkmcnt(0)
	v_cmp_le_u64_e32 vcc, s[30:31], v[1:2]
	s_mulk_i32 s6, 0x1800
	s_add_u32 s24, s24, s6
	s_addc_u32 s25, s25, s0
	s_mov_b64 s[0:1], -1
	v_lshlrev_b32_e32 v5, 1, v0
	s_cbranch_vccz .LBB23_84
; %bb.1:
	s_mul_i32 s0, s30, 0xfffff400
	s_add_i32 s28, s0, s28
	v_mov_b32_e32 v1, s25
	v_add_co_u32_e32 v3, vcc, s24, v5
	v_addc_co_u32_e32 v4, vcc, 0, v1, vcc
	v_cmp_gt_u32_e64 s[22:23], s28, v0
	v_mov_b32_e32 v15, 0
	s_and_saveexec_b64 s[0:1], s[22:23]
	s_cbranch_execz .LBB23_3
; %bb.2:
	global_load_ushort v15, v[3:4], off
.LBB23_3:
	s_or_b64 exec, exec, s[0:1]
	v_or_b32_e32 v1, 0x100, v0
	v_cmp_gt_u32_e64 s[20:21], s28, v1
	s_and_saveexec_b64 s[0:1], s[20:21]
	s_cbranch_execz .LBB23_5
; %bb.4:
	global_load_ushort v2, v[3:4], off offset:512
.LBB23_5:
	s_or_b64 exec, exec, s[0:1]
	v_or_b32_e32 v1, 0x200, v0
	v_cmp_gt_u32_e64 s[18:19], s28, v1
	v_mov_b32_e32 v13, 0
	v_mov_b32_e32 v14, 0
	s_and_saveexec_b64 s[0:1], s[18:19]
	s_cbranch_execz .LBB23_7
; %bb.6:
	global_load_ushort v14, v[3:4], off offset:1024
.LBB23_7:
	s_or_b64 exec, exec, s[0:1]
	v_or_b32_e32 v1, 0x300, v0
	v_cmp_gt_u32_e64 s[16:17], s28, v1
	s_and_saveexec_b64 s[0:1], s[16:17]
	s_cbranch_execz .LBB23_9
; %bb.8:
	global_load_ushort v13, v[3:4], off offset:1536
.LBB23_9:
	s_or_b64 exec, exec, s[0:1]
	v_or_b32_e32 v16, 0x400, v0
	v_cmp_gt_u32_e64 s[14:15], s28, v16
	v_mov_b32_e32 v11, 0
	v_mov_b32_e32 v12, 0
	s_and_saveexec_b64 s[0:1], s[14:15]
	s_cbranch_execz .LBB23_11
; %bb.10:
	global_load_ushort v12, v[3:4], off offset:2048
.LBB23_11:
	;; [unrolled: 18-line block ×3, first 2 shown]
	s_or_b64 exec, exec, s[0:1]
	v_or_b32_e32 v1, 0x700, v0
	v_cmp_gt_u32_e64 s[8:9], s28, v1
	s_and_saveexec_b64 s[0:1], s[8:9]
	s_cbranch_execz .LBB23_17
; %bb.16:
	global_load_ushort v8, v[3:4], off offset:3584
.LBB23_17:
	s_or_b64 exec, exec, s[0:1]
	v_or_b32_e32 v1, 0x800, v0
	v_cmp_gt_u32_e64 s[6:7], s28, v1
	v_mov_b32_e32 v6, 0
	v_mov_b32_e32 v9, 0
	s_and_saveexec_b64 s[0:1], s[6:7]
	s_cbranch_execz .LBB23_19
; %bb.18:
	v_add_co_u32_e32 v17, vcc, 0x1000, v3
	v_addc_co_u32_e32 v18, vcc, 0, v4, vcc
	global_load_ushort v9, v[17:18], off
.LBB23_19:
	s_or_b64 exec, exec, s[0:1]
	v_or_b32_e32 v1, 0x900, v0
	v_cmp_gt_u32_e64 s[4:5], s28, v1
	s_and_saveexec_b64 s[0:1], s[4:5]
	s_cbranch_execz .LBB23_21
; %bb.20:
	v_add_co_u32_e32 v6, vcc, 0x1000, v3
	v_addc_co_u32_e32 v7, vcc, 0, v4, vcc
	global_load_ushort v6, v[6:7], off offset:512
.LBB23_21:
	s_or_b64 exec, exec, s[0:1]
	v_or_b32_e32 v1, 0xa00, v0
	v_cmp_gt_u32_e64 s[2:3], s28, v1
	v_mov_b32_e32 v1, 0
	v_mov_b32_e32 v7, 0
	s_and_saveexec_b64 s[0:1], s[2:3]
	s_cbranch_execz .LBB23_23
; %bb.22:
	v_add_co_u32_e32 v17, vcc, 0x1000, v3
	v_addc_co_u32_e32 v18, vcc, 0, v4, vcc
	global_load_ushort v7, v[17:18], off offset:1024
.LBB23_23:
	s_or_b64 exec, exec, s[0:1]
	v_or_b32_e32 v17, 0xb00, v0
	v_cmp_gt_u32_e64 s[0:1], s28, v17
	s_and_saveexec_b64 s[28:29], s[0:1]
	s_cbranch_execz .LBB23_25
; %bb.24:
	v_add_co_u32_e32 v3, vcc, 0x1000, v3
	v_addc_co_u32_e32 v4, vcc, 0, v4, vcc
	global_load_ushort v1, v[3:4], off offset:1536
.LBB23_25:
	s_or_b64 exec, exec, s[28:29]
	s_movk_i32 s28, 0x700
	v_lshlrev_b32_e32 v3, 2, v0
	v_mov_b32_e32 v4, 0
	v_cmp_gt_u32_e32 vcc, s28, v16
	ds_write2st64_b32 v3, v4, v4 offset1:4
	ds_write2st64_b32 v3, v4, v4 offset0:8 offset1:12
	ds_write_b32 v3, v4 offset:4096
	s_and_saveexec_b64 s[28:29], vcc
	s_cbranch_execz .LBB23_29
; %bb.26:
	s_movk_i32 s30, 0x200
	v_cmp_gt_u32_e32 vcc, s30, v0
	ds_write_b32 v3, v4 offset:5120
	s_and_b64 exec, exec, vcc
	s_cbranch_execz .LBB23_29
; %bb.27:
	s_movk_i32 s30, 0x100
	v_mov_b32_e32 v4, 0
	v_cmp_gt_u32_e32 vcc, s30, v0
	ds_write_b32 v3, v4 offset:6144
	s_and_b64 exec, exec, vcc
; %bb.28:
	ds_write_b32 v3, v4 offset:7168
.LBB23_29:
	s_or_b64 exec, exec, s[28:29]
	s_cmp_gt_u32 s35, s34
	s_cselect_b64 s[28:29], -1, 0
	s_cmp_le_u32 s35, s34
	s_waitcnt vmcnt(0) lgkmcnt(0)
	s_barrier
	s_cbranch_scc1 .LBB23_78
; %bb.30:
	v_and_b32_e32 v3, 3, v0
	v_lshlrev_b32_e32 v3, 2, v3
	s_sub_i32 s33, s35, s34
	v_mov_b32_e32 v4, 1
	s_mov_b32 s36, s33
	v_mov_b32_e32 v16, v3
	s_mov_b32 s37, s34
	s_branch .LBB23_32
.LBB23_31:                              ;   in Loop: Header=BB23_32 Depth=1
	s_or_b64 exec, exec, s[30:31]
	s_add_i32 s37, s37, 8
	s_add_i32 s36, s36, -8
	s_cmp_lt_u32 s37, s35
	v_add_u32_e32 v16, 0x1000, v16
	s_cbranch_scc0 .LBB23_34
.LBB23_32:                              ; =>This Inner Loop Header: Depth=1
	s_and_saveexec_b64 s[30:31], s[22:23]
	s_cbranch_execz .LBB23_31
; %bb.33:                               ;   in Loop: Header=BB23_32 Depth=1
	s_min_u32 s38, s36, 8
	v_lshrrev_b32_e32 v17, s37, v15
	v_bfe_u32 v17, v17, 0, s38
	v_lshl_add_u32 v17, v17, 4, v16
	ds_add_u32 v17, v4
	s_branch .LBB23_31
.LBB23_34:
	v_mov_b32_e32 v4, 1
	s_mov_b32 s30, s33
	v_mov_b32_e32 v15, v3
	s_mov_b32 s31, s34
	s_branch .LBB23_36
.LBB23_35:                              ;   in Loop: Header=BB23_36 Depth=1
	s_or_b64 exec, exec, s[22:23]
	s_add_i32 s31, s31, 8
	s_add_i32 s30, s30, -8
	s_cmp_lt_u32 s31, s35
	v_add_u32_e32 v15, 0x1000, v15
	s_cbranch_scc0 .LBB23_38
.LBB23_36:                              ; =>This Inner Loop Header: Depth=1
	s_and_saveexec_b64 s[22:23], s[20:21]
	s_cbranch_execz .LBB23_35
; %bb.37:                               ;   in Loop: Header=BB23_36 Depth=1
	s_min_u32 s36, s30, 8
	v_lshrrev_b32_e32 v16, s31, v2
	v_bfe_u32 v16, v16, 0, s36
	v_lshl_add_u32 v16, v16, 4, v15
	ds_add_u32 v16, v4
	s_branch .LBB23_35
.LBB23_38:
	;; [unrolled: 23-line block ×11, first 2 shown]
	v_mov_b32_e32 v2, 1
	s_mov_b32 s4, s34
	s_branch .LBB23_76
.LBB23_75:                              ;   in Loop: Header=BB23_76 Depth=1
	s_or_b64 exec, exec, s[2:3]
	s_add_i32 s4, s4, 8
	s_add_i32 s33, s33, -8
	s_cmp_lt_u32 s4, s35
	v_add_u32_e32 v3, 0x1000, v3
	s_cbranch_scc0 .LBB23_78
.LBB23_76:                              ; =>This Inner Loop Header: Depth=1
	s_and_saveexec_b64 s[2:3], s[0:1]
	s_cbranch_execz .LBB23_75
; %bb.77:                               ;   in Loop: Header=BB23_76 Depth=1
	s_min_u32 s5, s33, 8
	v_lshrrev_b32_e32 v4, s4, v1
	v_bfe_u32 v4, v4, 0, s5
	v_lshl_add_u32 v4, v4, 4, v3
	ds_add_u32 v4, v2
	s_branch .LBB23_75
.LBB23_78:
	s_and_b64 vcc, exec, s[28:29]
	s_waitcnt lgkmcnt(0)
	s_barrier
	s_cbranch_vccz .LBB23_83
; %bb.79:
	s_movk_i32 s0, 0x100
	v_cmp_gt_u32_e32 vcc, s0, v0
	v_lshlrev_b32_e32 v3, 4, v0
	v_mov_b32_e32 v2, 0
	v_mov_b32_e32 v1, v0
	s_mov_b32 s4, s34
	s_branch .LBB23_81
.LBB23_80:                              ;   in Loop: Header=BB23_81 Depth=1
	s_or_b64 exec, exec, s[2:3]
	s_add_i32 s4, s4, 8
	v_add_u32_e32 v1, 0x100, v1
	s_cmp_lt_u32 s4, s35
	v_add_u32_e32 v3, 0x1000, v3
	s_cbranch_scc0 .LBB23_83
.LBB23_81:                              ; =>This Inner Loop Header: Depth=1
	s_and_saveexec_b64 s[2:3], vcc
	s_cbranch_execz .LBB23_80
; %bb.82:                               ;   in Loop: Header=BB23_81 Depth=1
	ds_read2_b32 v[6:7], v3 offset1:1
	ds_read2_b32 v[8:9], v3 offset0:2 offset1:3
	v_lshlrev_b64 v[10:11], 3, v[1:2]
	v_mov_b32_e32 v4, s27
	s_waitcnt lgkmcnt(1)
	v_add_u32_e32 v6, v7, v6
	s_waitcnt lgkmcnt(0)
	v_add3_u32 v6, v6, v8, v9
	v_add_co_u32_e64 v8, s[0:1], s26, v10
	v_addc_co_u32_e64 v9, s[0:1], v4, v11, s[0:1]
	v_mov_b32_e32 v7, v2
	global_atomic_add_x2 v[8:9], v[6:7], off
	s_branch .LBB23_80
.LBB23_83:
	s_mov_b64 s[0:1], 0
.LBB23_84:
	s_and_b64 vcc, exec, s[0:1]
	s_cbranch_vccz .LBB23_128
; %bb.85:
	v_mov_b32_e32 v1, s25
	v_add_co_u32_e32 v2, vcc, s24, v5
	v_addc_co_u32_e32 v3, vcc, 0, v1, vcc
	v_add_co_u32_e32 v1, vcc, 0x1000, v2
	global_load_ushort v11, v5, s[24:25] offset:2048
	global_load_ushort v10, v5, s[24:25] offset:2560
	;; [unrolled: 1-line block ×4, first 2 shown]
	v_addc_co_u32_e32 v2, vcc, 0, v3, vcc
	global_load_ushort v15, v5, s[24:25]
	global_load_ushort v14, v5, s[24:25] offset:512
	global_load_ushort v13, v5, s[24:25] offset:1024
	;; [unrolled: 1-line block ×3, first 2 shown]
	global_load_ushort v8, v[1:2], off
	global_load_ushort v6, v[1:2], off offset:512
	global_load_ushort v4, v[1:2], off offset:1024
	;; [unrolled: 1-line block ×3, first 2 shown]
	s_cmp_lg_u32 s34, 0
	s_cselect_b64 s[0:1], -1, 0
	s_cmp_lg_u32 s35, 16
	s_cselect_b64 s[2:3], -1, 0
	s_or_b64 s[2:3], s[0:1], s[2:3]
	v_mov_b32_e32 v1, 0
	s_mov_b64 s[0:1], -1
	s_and_b64 vcc, exec, s[2:3]
	v_lshlrev_b32_e32 v5, 2, v0
	s_cbranch_vccz .LBB23_121
; %bb.86:
	v_or_b32_e32 v2, 0x400, v0
	s_movk_i32 s0, 0x700
	v_cmp_gt_u32_e32 vcc, s0, v2
	ds_write2st64_b32 v5, v1, v1 offset1:4
	ds_write2st64_b32 v5, v1, v1 offset0:8 offset1:12
	ds_write_b32 v5, v1 offset:4096
	s_and_saveexec_b64 s[0:1], vcc
	s_cbranch_execz .LBB23_90
; %bb.87:
	s_movk_i32 s2, 0x200
	v_mov_b32_e32 v1, 0
	v_cmp_gt_u32_e32 vcc, s2, v0
	ds_write_b32 v5, v1 offset:5120
	s_and_b64 exec, exec, vcc
	s_cbranch_execz .LBB23_90
; %bb.88:
	s_movk_i32 s2, 0x100
	v_cmp_gt_u32_e32 vcc, s2, v0
	ds_write_b32 v5, v1 offset:6144
	s_and_b64 exec, exec, vcc
; %bb.89:
	v_mov_b32_e32 v1, 0
	ds_write_b32 v5, v1 offset:7168
.LBB23_90:
	s_or_b64 exec, exec, s[0:1]
	s_cmp_gt_u32 s35, s34
	s_cselect_b64 s[0:1], -1, 0
	s_cmp_le_u32 s35, s34
	s_waitcnt vmcnt(0) lgkmcnt(0)
	s_barrier
	s_cbranch_scc1 .LBB23_115
; %bb.91:
	v_and_b32_e32 v1, 3, v0
	v_lshlrev_b32_e32 v1, 2, v1
	s_sub_i32 s2, s35, s34
	v_mov_b32_e32 v2, 1
	s_mov_b32 s3, s2
	v_mov_b32_e32 v16, v1
	s_mov_b32 s4, s34
.LBB23_92:                              ; =>This Inner Loop Header: Depth=1
	s_min_u32 s5, s3, 8
	v_lshrrev_b32_e32 v17, s4, v15
	v_bfe_u32 v17, v17, 0, s5
	v_lshl_add_u32 v17, v17, 4, v16
	ds_add_u32 v17, v2
	s_add_i32 s4, s4, 8
	s_add_i32 s3, s3, -8
	s_cmp_ge_u32 s4, s35
	v_add_u32_e32 v16, 0x1000, v16
	s_cbranch_scc0 .LBB23_92
; %bb.93:
	v_mov_b32_e32 v2, 1
	s_mov_b32 s3, s2
	v_mov_b32_e32 v16, v1
	s_mov_b32 s4, s34
.LBB23_94:                              ; =>This Inner Loop Header: Depth=1
	s_min_u32 s5, s3, 8
	v_lshrrev_b32_e32 v17, s4, v14
	v_bfe_u32 v17, v17, 0, s5
	v_lshl_add_u32 v17, v17, 4, v16
	ds_add_u32 v17, v2
	s_add_i32 s4, s4, 8
	s_add_i32 s3, s3, -8
	s_cmp_lt_u32 s4, s35
	v_add_u32_e32 v16, 0x1000, v16
	s_cbranch_scc1 .LBB23_94
; %bb.95:
	v_mov_b32_e32 v2, 1
	s_mov_b32 s3, s2
	v_mov_b32_e32 v16, v1
	s_mov_b32 s4, s34
.LBB23_96:                              ; =>This Inner Loop Header: Depth=1
	s_min_u32 s5, s3, 8
	v_lshrrev_b32_e32 v17, s4, v13
	v_bfe_u32 v17, v17, 0, s5
	v_lshl_add_u32 v17, v17, 4, v16
	ds_add_u32 v17, v2
	s_add_i32 s4, s4, 8
	s_add_i32 s3, s3, -8
	s_cmp_lt_u32 s4, s35
	v_add_u32_e32 v16, 0x1000, v16
	s_cbranch_scc1 .LBB23_96
	;; [unrolled: 16-line block ×3, first 2 shown]
; %bb.99:
	v_mov_b32_e32 v2, 1
	s_mov_b32 s3, s2
	v_mov_b32_e32 v16, v1
	s_mov_b32 s4, s34
.LBB23_100:                             ; =>This Inner Loop Header: Depth=1
	s_min_u32 s5, s3, 8
	v_lshrrev_b32_e32 v17, s4, v11
	v_bfe_u32 v17, v17, 0, s5
	v_lshl_add_u32 v17, v17, 4, v16
	ds_add_u32 v17, v2
	s_add_i32 s4, s4, 8
	s_add_i32 s3, s3, -8
	s_cmp_lt_u32 s4, s35
	v_add_u32_e32 v16, 0x1000, v16
	s_cbranch_scc1 .LBB23_100
; %bb.101:
	v_mov_b32_e32 v2, 1
	s_mov_b32 s3, s2
	v_mov_b32_e32 v16, v1
	s_mov_b32 s4, s34
.LBB23_102:                             ; =>This Inner Loop Header: Depth=1
	s_min_u32 s5, s3, 8
	v_lshrrev_b32_e32 v17, s4, v10
	v_bfe_u32 v17, v17, 0, s5
	v_lshl_add_u32 v17, v17, 4, v16
	ds_add_u32 v17, v2
	s_add_i32 s4, s4, 8
	s_add_i32 s3, s3, -8
	s_cmp_lt_u32 s4, s35
	v_add_u32_e32 v16, 0x1000, v16
	s_cbranch_scc1 .LBB23_102
	;; [unrolled: 16-line block ×7, first 2 shown]
; %bb.113:
	v_mov_b32_e32 v2, 1
	s_mov_b32 s3, s34
.LBB23_114:                             ; =>This Inner Loop Header: Depth=1
	s_min_u32 s4, s2, 8
	v_lshrrev_b32_e32 v16, s3, v3
	v_bfe_u32 v16, v16, 0, s4
	v_lshl_add_u32 v16, v16, 4, v1
	ds_add_u32 v16, v2
	s_add_i32 s3, s3, 8
	s_add_i32 s2, s2, -8
	s_cmp_lt_u32 s3, s35
	v_add_u32_e32 v1, 0x1000, v1
	s_cbranch_scc1 .LBB23_114
.LBB23_115:
	s_and_b64 vcc, exec, s[0:1]
	s_waitcnt lgkmcnt(0)
	s_barrier
	s_cbranch_vccz .LBB23_120
; %bb.116:
	s_movk_i32 s0, 0x100
	v_cmp_gt_u32_e32 vcc, s0, v0
	v_lshlrev_b32_e32 v16, 4, v0
	v_mov_b32_e32 v2, 0
	v_mov_b32_e32 v1, v0
	s_branch .LBB23_118
.LBB23_117:                             ;   in Loop: Header=BB23_118 Depth=1
	s_or_b64 exec, exec, s[2:3]
	s_add_i32 s34, s34, 8
	v_add_u32_e32 v1, 0x100, v1
	s_cmp_ge_u32 s34, s35
	v_add_u32_e32 v16, 0x1000, v16
	s_cbranch_scc1 .LBB23_120
.LBB23_118:                             ; =>This Inner Loop Header: Depth=1
	s_and_saveexec_b64 s[2:3], vcc
	s_cbranch_execz .LBB23_117
; %bb.119:                              ;   in Loop: Header=BB23_118 Depth=1
	ds_read2_b32 v[17:18], v16 offset1:1
	ds_read2_b32 v[19:20], v16 offset0:2 offset1:3
	v_lshlrev_b64 v[21:22], 3, v[1:2]
	v_mov_b32_e32 v23, s27
	s_waitcnt lgkmcnt(1)
	v_add_u32_e32 v17, v18, v17
	s_waitcnt lgkmcnt(0)
	v_add3_u32 v17, v17, v19, v20
	v_add_co_u32_e64 v19, s[0:1], s26, v21
	v_addc_co_u32_e64 v20, s[0:1], v23, v22, s[0:1]
	v_mov_b32_e32 v18, v2
	global_atomic_add_x2 v[19:20], v[17:18], off
	s_branch .LBB23_117
.LBB23_120:
	s_mov_b64 s[0:1], 0
.LBB23_121:
	s_and_b64 vcc, exec, s[0:1]
	s_cbranch_vccz .LBB23_128
; %bb.122:
	v_or_b32_e32 v2, 0x400, v0
	s_movk_i32 s0, 0x700
	v_mov_b32_e32 v1, 0
	v_cmp_gt_u32_e32 vcc, s0, v2
	ds_write2st64_b32 v5, v1, v1 offset1:4
	ds_write2st64_b32 v5, v1, v1 offset0:8 offset1:12
	ds_write_b32 v5, v1 offset:4096
	s_and_saveexec_b64 s[0:1], vcc
	s_cbranch_execz .LBB23_126
; %bb.123:
	s_movk_i32 s2, 0x200
	v_cmp_gt_u32_e32 vcc, s2, v0
	ds_write_b32 v5, v1 offset:5120
	s_and_b64 exec, exec, vcc
	s_cbranch_execz .LBB23_126
; %bb.124:
	s_movk_i32 s2, 0x100
	v_mov_b32_e32 v1, 0
	v_cmp_gt_u32_e32 vcc, s2, v0
	ds_write_b32 v5, v1 offset:6144
	s_and_b64 exec, exec, vcc
; %bb.125:
	ds_write_b32 v5, v1 offset:7168
.LBB23_126:
	s_or_b64 exec, exec, s[0:1]
	v_and_b32_e32 v1, 3, v0
	s_waitcnt vmcnt(7)
	v_lshlrev_b32_e32 v2, 4, v15
	v_lshlrev_b32_e32 v1, 2, v1
	s_movk_i32 s0, 0xff0
	v_and_or_b32 v2, v2, s0, v1
	v_mov_b32_e32 v5, 1
	s_waitcnt vmcnt(0) lgkmcnt(0)
	s_barrier
	ds_add_u32 v2, v5
	v_bfe_u32 v2, v15, 8, 8
	v_lshl_or_b32 v2, v2, 4, v1
	ds_add_u32 v2, v5 offset:4096
	v_lshlrev_b32_e32 v2, 4, v14
	v_and_or_b32 v2, v2, s0, v1
	ds_add_u32 v2, v5
	v_bfe_u32 v2, v14, 8, 8
	v_lshl_or_b32 v2, v2, 4, v1
	ds_add_u32 v2, v5 offset:4096
	v_lshlrev_b32_e32 v2, 4, v13
	v_and_or_b32 v2, v2, s0, v1
	;; [unrolled: 6-line block ×11, first 2 shown]
	ds_add_u32 v2, v5
	v_bfe_u32 v2, v3, 8, 8
	v_lshl_or_b32 v1, v2, 4, v1
	ds_add_u32 v1, v5 offset:4096
	s_movk_i32 s0, 0x100
	v_cmp_gt_u32_e32 vcc, s0, v0
	s_waitcnt lgkmcnt(0)
	s_barrier
	s_and_saveexec_b64 s[0:1], vcc
	s_cbranch_execz .LBB23_128
; %bb.127:
	v_lshlrev_b32_e32 v6, 4, v0
	ds_read2_b32 v[1:2], v6 offset1:1
	ds_read2_b32 v[3:4], v6 offset0:2 offset1:3
	v_lshlrev_b32_e32 v7, 3, v0
	v_mov_b32_e32 v5, 0
	v_or_b32_e32 v0, 0x1000, v6
	s_waitcnt lgkmcnt(1)
	v_add_u32_e32 v1, v2, v1
	s_waitcnt lgkmcnt(0)
	v_add3_u32 v4, v1, v3, v4
	global_atomic_add_x2 v7, v[4:5], s[26:27]
	v_or_b32_e32 v2, 0x1008, v6
	ds_read2_b32 v[0:1], v0 offset1:1
	ds_read2_b32 v[2:3], v2 offset1:1
	s_waitcnt lgkmcnt(1)
	v_add_u32_e32 v0, v1, v0
	s_waitcnt lgkmcnt(0)
	v_add3_u32 v4, v0, v2, v3
	global_atomic_add_x2 v7, v[4:5], s[26:27] offset:2048
.LBB23_128:
	s_endpgm
	.section	.rodata,"a",@progbits
	.p2align	6, 0x0
	.amdhsa_kernel _ZN7rocprim17ROCPRIM_304000_NS6detail26onesweep_histograms_kernelINS1_34wrapped_radix_sort_onesweep_configINS0_14default_configEtN2at4cuda3cub6detail10OpaqueTypeILi8EEEEELb0EPKtmNS0_19identity_decomposerEEEvT1_PT2_SG_SG_T3_jj
		.amdhsa_group_segment_fixed_size 8192
		.amdhsa_private_segment_fixed_size 0
		.amdhsa_kernarg_size 44
		.amdhsa_user_sgpr_count 6
		.amdhsa_user_sgpr_private_segment_buffer 1
		.amdhsa_user_sgpr_dispatch_ptr 0
		.amdhsa_user_sgpr_queue_ptr 0
		.amdhsa_user_sgpr_kernarg_segment_ptr 1
		.amdhsa_user_sgpr_dispatch_id 0
		.amdhsa_user_sgpr_flat_scratch_init 0
		.amdhsa_user_sgpr_private_segment_size 0
		.amdhsa_uses_dynamic_stack 0
		.amdhsa_system_sgpr_private_segment_wavefront_offset 0
		.amdhsa_system_sgpr_workgroup_id_x 1
		.amdhsa_system_sgpr_workgroup_id_y 0
		.amdhsa_system_sgpr_workgroup_id_z 0
		.amdhsa_system_sgpr_workgroup_info 0
		.amdhsa_system_vgpr_workitem_id 0
		.amdhsa_next_free_vgpr 29
		.amdhsa_next_free_sgpr 61
		.amdhsa_reserve_vcc 1
		.amdhsa_reserve_flat_scratch 0
		.amdhsa_float_round_mode_32 0
		.amdhsa_float_round_mode_16_64 0
		.amdhsa_float_denorm_mode_32 3
		.amdhsa_float_denorm_mode_16_64 3
		.amdhsa_dx10_clamp 1
		.amdhsa_ieee_mode 1
		.amdhsa_fp16_overflow 0
		.amdhsa_exception_fp_ieee_invalid_op 0
		.amdhsa_exception_fp_denorm_src 0
		.amdhsa_exception_fp_ieee_div_zero 0
		.amdhsa_exception_fp_ieee_overflow 0
		.amdhsa_exception_fp_ieee_underflow 0
		.amdhsa_exception_fp_ieee_inexact 0
		.amdhsa_exception_int_div_zero 0
	.end_amdhsa_kernel
	.section	.text._ZN7rocprim17ROCPRIM_304000_NS6detail26onesweep_histograms_kernelINS1_34wrapped_radix_sort_onesweep_configINS0_14default_configEtN2at4cuda3cub6detail10OpaqueTypeILi8EEEEELb0EPKtmNS0_19identity_decomposerEEEvT1_PT2_SG_SG_T3_jj,"axG",@progbits,_ZN7rocprim17ROCPRIM_304000_NS6detail26onesweep_histograms_kernelINS1_34wrapped_radix_sort_onesweep_configINS0_14default_configEtN2at4cuda3cub6detail10OpaqueTypeILi8EEEEELb0EPKtmNS0_19identity_decomposerEEEvT1_PT2_SG_SG_T3_jj,comdat
.Lfunc_end23:
	.size	_ZN7rocprim17ROCPRIM_304000_NS6detail26onesweep_histograms_kernelINS1_34wrapped_radix_sort_onesweep_configINS0_14default_configEtN2at4cuda3cub6detail10OpaqueTypeILi8EEEEELb0EPKtmNS0_19identity_decomposerEEEvT1_PT2_SG_SG_T3_jj, .Lfunc_end23-_ZN7rocprim17ROCPRIM_304000_NS6detail26onesweep_histograms_kernelINS1_34wrapped_radix_sort_onesweep_configINS0_14default_configEtN2at4cuda3cub6detail10OpaqueTypeILi8EEEEELb0EPKtmNS0_19identity_decomposerEEEvT1_PT2_SG_SG_T3_jj
                                        ; -- End function
	.set _ZN7rocprim17ROCPRIM_304000_NS6detail26onesweep_histograms_kernelINS1_34wrapped_radix_sort_onesweep_configINS0_14default_configEtN2at4cuda3cub6detail10OpaqueTypeILi8EEEEELb0EPKtmNS0_19identity_decomposerEEEvT1_PT2_SG_SG_T3_jj.num_vgpr, 24
	.set _ZN7rocprim17ROCPRIM_304000_NS6detail26onesweep_histograms_kernelINS1_34wrapped_radix_sort_onesweep_configINS0_14default_configEtN2at4cuda3cub6detail10OpaqueTypeILi8EEEEELb0EPKtmNS0_19identity_decomposerEEEvT1_PT2_SG_SG_T3_jj.num_agpr, 0
	.set _ZN7rocprim17ROCPRIM_304000_NS6detail26onesweep_histograms_kernelINS1_34wrapped_radix_sort_onesweep_configINS0_14default_configEtN2at4cuda3cub6detail10OpaqueTypeILi8EEEEELb0EPKtmNS0_19identity_decomposerEEEvT1_PT2_SG_SG_T3_jj.numbered_sgpr, 39
	.set _ZN7rocprim17ROCPRIM_304000_NS6detail26onesweep_histograms_kernelINS1_34wrapped_radix_sort_onesweep_configINS0_14default_configEtN2at4cuda3cub6detail10OpaqueTypeILi8EEEEELb0EPKtmNS0_19identity_decomposerEEEvT1_PT2_SG_SG_T3_jj.num_named_barrier, 0
	.set _ZN7rocprim17ROCPRIM_304000_NS6detail26onesweep_histograms_kernelINS1_34wrapped_radix_sort_onesweep_configINS0_14default_configEtN2at4cuda3cub6detail10OpaqueTypeILi8EEEEELb0EPKtmNS0_19identity_decomposerEEEvT1_PT2_SG_SG_T3_jj.private_seg_size, 0
	.set _ZN7rocprim17ROCPRIM_304000_NS6detail26onesweep_histograms_kernelINS1_34wrapped_radix_sort_onesweep_configINS0_14default_configEtN2at4cuda3cub6detail10OpaqueTypeILi8EEEEELb0EPKtmNS0_19identity_decomposerEEEvT1_PT2_SG_SG_T3_jj.uses_vcc, 1
	.set _ZN7rocprim17ROCPRIM_304000_NS6detail26onesweep_histograms_kernelINS1_34wrapped_radix_sort_onesweep_configINS0_14default_configEtN2at4cuda3cub6detail10OpaqueTypeILi8EEEEELb0EPKtmNS0_19identity_decomposerEEEvT1_PT2_SG_SG_T3_jj.uses_flat_scratch, 0
	.set _ZN7rocprim17ROCPRIM_304000_NS6detail26onesweep_histograms_kernelINS1_34wrapped_radix_sort_onesweep_configINS0_14default_configEtN2at4cuda3cub6detail10OpaqueTypeILi8EEEEELb0EPKtmNS0_19identity_decomposerEEEvT1_PT2_SG_SG_T3_jj.has_dyn_sized_stack, 0
	.set _ZN7rocprim17ROCPRIM_304000_NS6detail26onesweep_histograms_kernelINS1_34wrapped_radix_sort_onesweep_configINS0_14default_configEtN2at4cuda3cub6detail10OpaqueTypeILi8EEEEELb0EPKtmNS0_19identity_decomposerEEEvT1_PT2_SG_SG_T3_jj.has_recursion, 0
	.set _ZN7rocprim17ROCPRIM_304000_NS6detail26onesweep_histograms_kernelINS1_34wrapped_radix_sort_onesweep_configINS0_14default_configEtN2at4cuda3cub6detail10OpaqueTypeILi8EEEEELb0EPKtmNS0_19identity_decomposerEEEvT1_PT2_SG_SG_T3_jj.has_indirect_call, 0
	.section	.AMDGPU.csdata,"",@progbits
; Kernel info:
; codeLenInByte = 4168
; TotalNumSgprs: 43
; NumVgprs: 24
; ScratchSize: 0
; MemoryBound: 0
; FloatMode: 240
; IeeeMode: 1
; LDSByteSize: 8192 bytes/workgroup (compile time only)
; SGPRBlocks: 8
; VGPRBlocks: 7
; NumSGPRsForWavesPerEU: 65
; NumVGPRsForWavesPerEU: 29
; Occupancy: 8
; WaveLimiterHint : 1
; COMPUTE_PGM_RSRC2:SCRATCH_EN: 0
; COMPUTE_PGM_RSRC2:USER_SGPR: 6
; COMPUTE_PGM_RSRC2:TRAP_HANDLER: 0
; COMPUTE_PGM_RSRC2:TGID_X_EN: 1
; COMPUTE_PGM_RSRC2:TGID_Y_EN: 0
; COMPUTE_PGM_RSRC2:TGID_Z_EN: 0
; COMPUTE_PGM_RSRC2:TIDIG_COMP_CNT: 0
	.section	.text._ZN7rocprim17ROCPRIM_304000_NS6detail25onesweep_iteration_kernelINS1_34wrapped_radix_sort_onesweep_configINS0_14default_configEtN2at4cuda3cub6detail10OpaqueTypeILi8EEEEELb0EPKtPtPKSA_PSA_mNS0_19identity_decomposerEEEvT1_T2_T3_T4_jPT5_SO_PNS1_23onesweep_lookback_stateET6_jjj,"axG",@progbits,_ZN7rocprim17ROCPRIM_304000_NS6detail25onesweep_iteration_kernelINS1_34wrapped_radix_sort_onesweep_configINS0_14default_configEtN2at4cuda3cub6detail10OpaqueTypeILi8EEEEELb0EPKtPtPKSA_PSA_mNS0_19identity_decomposerEEEvT1_T2_T3_T4_jPT5_SO_PNS1_23onesweep_lookback_stateET6_jjj,comdat
	.protected	_ZN7rocprim17ROCPRIM_304000_NS6detail25onesweep_iteration_kernelINS1_34wrapped_radix_sort_onesweep_configINS0_14default_configEtN2at4cuda3cub6detail10OpaqueTypeILi8EEEEELb0EPKtPtPKSA_PSA_mNS0_19identity_decomposerEEEvT1_T2_T3_T4_jPT5_SO_PNS1_23onesweep_lookback_stateET6_jjj ; -- Begin function _ZN7rocprim17ROCPRIM_304000_NS6detail25onesweep_iteration_kernelINS1_34wrapped_radix_sort_onesweep_configINS0_14default_configEtN2at4cuda3cub6detail10OpaqueTypeILi8EEEEELb0EPKtPtPKSA_PSA_mNS0_19identity_decomposerEEEvT1_T2_T3_T4_jPT5_SO_PNS1_23onesweep_lookback_stateET6_jjj
	.globl	_ZN7rocprim17ROCPRIM_304000_NS6detail25onesweep_iteration_kernelINS1_34wrapped_radix_sort_onesweep_configINS0_14default_configEtN2at4cuda3cub6detail10OpaqueTypeILi8EEEEELb0EPKtPtPKSA_PSA_mNS0_19identity_decomposerEEEvT1_T2_T3_T4_jPT5_SO_PNS1_23onesweep_lookback_stateET6_jjj
	.p2align	8
	.type	_ZN7rocprim17ROCPRIM_304000_NS6detail25onesweep_iteration_kernelINS1_34wrapped_radix_sort_onesweep_configINS0_14default_configEtN2at4cuda3cub6detail10OpaqueTypeILi8EEEEELb0EPKtPtPKSA_PSA_mNS0_19identity_decomposerEEEvT1_T2_T3_T4_jPT5_SO_PNS1_23onesweep_lookback_stateET6_jjj,@function
_ZN7rocprim17ROCPRIM_304000_NS6detail25onesweep_iteration_kernelINS1_34wrapped_radix_sort_onesweep_configINS0_14default_configEtN2at4cuda3cub6detail10OpaqueTypeILi8EEEEELb0EPKtPtPKSA_PSA_mNS0_19identity_decomposerEEEvT1_T2_T3_T4_jPT5_SO_PNS1_23onesweep_lookback_stateET6_jjj: ; @_ZN7rocprim17ROCPRIM_304000_NS6detail25onesweep_iteration_kernelINS1_34wrapped_radix_sort_onesweep_configINS0_14default_configEtN2at4cuda3cub6detail10OpaqueTypeILi8EEEEELb0EPKtPtPKSA_PSA_mNS0_19identity_decomposerEEEvT1_T2_T3_T4_jPT5_SO_PNS1_23onesweep_lookback_stateET6_jjj
; %bb.0:
	s_load_dwordx8 s[56:63], s[4:5], 0x0
	s_load_dwordx4 s[68:71], s[4:5], 0x44
	s_load_dwordx4 s[64:67], s[4:5], 0x28
	s_load_dwordx2 s[72:73], s[4:5], 0x38
	s_mov_b32 s7, s6
	s_mov_b64 s[0:1], -1
	s_waitcnt lgkmcnt(0)
	s_cmp_ge_u32 s6, s70
	s_mul_i32 s54, s6, 0xc00
	v_mbcnt_lo_u32_b32 v29, -1, 0
	s_cbranch_scc0 .LBB24_152
; %bb.1:
	s_load_dword s2, s[4:5], 0x20
	s_mulk_i32 s70, 0xf400
	s_mov_b32 s55, 0
	s_lshl_b64 s[0:1], s[54:55], 1
	v_mbcnt_hi_u32_b32 v9, -1, v29
	s_waitcnt lgkmcnt(0)
	s_add_i32 s70, s70, s2
	s_add_u32 s0, s56, s0
	s_addc_u32 s1, s57, s1
	v_and_b32_e32 v17, 0xc0, v0
	v_lshlrev_b32_e32 v3, 1, v9
	v_mul_u32_u24_e32 v10, 12, v17
	v_mov_b32_e32 v4, s1
	v_add_co_u32_e32 v3, vcc, s0, v3
	v_addc_co_u32_e32 v4, vcc, 0, v4, vcc
	v_lshlrev_b32_e32 v5, 1, v10
	v_add_co_u32_e32 v3, vcc, v3, v5
	v_addc_co_u32_e32 v4, vcc, 0, v4, vcc
	v_or_b32_e32 v22, v9, v10
	v_cmp_gt_u32_e32 vcc, s70, v22
	v_mov_b32_e32 v24, 0xffff
	v_mov_b32_e32 v7, -1
	v_mov_b32_e32 v8, -1
	v_mov_b32_e32 v5, 0xffff
	s_and_saveexec_b64 s[0:1], vcc
	s_cbranch_execz .LBB24_3
; %bb.2:
	global_load_ushort v8, v[3:4], off
	s_waitcnt vmcnt(0)
	v_and_b32_e32 v5, 0xffff, v8
.LBB24_3:
	s_or_b64 exec, exec, s[0:1]
	v_add_u32_e32 v6, 64, v22
	v_cmp_gt_u32_e64 s[0:1], s70, v6
	s_and_saveexec_b64 s[2:3], s[0:1]
	s_cbranch_execz .LBB24_5
; %bb.4:
	global_load_ushort v7, v[3:4], off offset:128
	s_waitcnt vmcnt(0)
	v_and_b32_e32 v24, 0xffff, v7
.LBB24_5:
	s_or_b64 exec, exec, s[2:3]
	v_add_u32_e32 v6, 0x80, v22
	v_cmp_gt_u32_e64 s[2:3], s70, v6
	v_mov_b32_e32 v34, 0xffff
	v_mov_b32_e32 v11, -1
	v_mov_b32_e32 v12, -1
	v_mov_b32_e32 v27, 0xffff
	s_and_saveexec_b64 s[8:9], s[2:3]
	s_cbranch_execz .LBB24_7
; %bb.6:
	global_load_ushort v12, v[3:4], off offset:256
	s_waitcnt vmcnt(0)
	v_and_b32_e32 v27, 0xffff, v12
.LBB24_7:
	s_or_b64 exec, exec, s[8:9]
	v_add_u32_e32 v6, 0xc0, v22
	v_cmp_gt_u32_e64 s[50:51], s70, v6
	s_and_saveexec_b64 s[8:9], s[50:51]
	s_cbranch_execz .LBB24_9
; %bb.8:
	global_load_ushort v11, v[3:4], off offset:384
	s_waitcnt vmcnt(0)
	v_and_b32_e32 v34, 0xffff, v11
.LBB24_9:
	s_or_b64 exec, exec, s[8:9]
	v_add_u32_e32 v6, 0x100, v22
	v_cmp_gt_u32_e64 s[8:9], s70, v6
	v_mov_b32_e32 v42, 0xffff
	v_mov_b32_e32 v13, -1
	v_mov_b32_e32 v14, -1
	v_mov_b32_e32 v38, 0xffff
	s_and_saveexec_b64 s[10:11], s[8:9]
	s_cbranch_execz .LBB24_11
; %bb.10:
	global_load_ushort v14, v[3:4], off offset:512
	s_waitcnt vmcnt(0)
	v_and_b32_e32 v38, 0xffff, v14
.LBB24_11:
	;; [unrolled: 24-line block ×5, first 2 shown]
	s_or_b64 exec, exec, s[22:23]
	v_add_u32_e32 v22, 0x2c0, v22
	v_cmp_gt_u32_e64 s[22:23], s70, v22
	s_and_saveexec_b64 s[24:25], s[22:23]
	s_cbranch_execz .LBB24_25
; %bb.24:
	global_load_ushort v20, v[3:4], off offset:1408
	s_waitcnt vmcnt(0)
	v_and_b32_e32 v6, 0xffff, v20
.LBB24_25:
	s_or_b64 exec, exec, s[24:25]
	s_load_dword s24, s[4:5], 0x5c
	s_load_dword s33, s[4:5], 0x50
	s_add_u32 s25, s4, 0x50
	s_addc_u32 s26, s5, 0
	v_mov_b32_e32 v3, 0
	s_waitcnt lgkmcnt(0)
	s_lshr_b32 s27, s24, 16
	s_cmp_lt_u32 s6, s33
	s_cselect_b32 s24, 12, 18
	s_add_u32 s24, s25, s24
	s_addc_u32 s25, s26, 0
	global_load_ushort v23, v3, s[24:25]
	s_lshl_b32 s24, -1, s69
	v_lshrrev_b32_e32 v4, s68, v5
	s_not_b32 s74, s24
	v_and_b32_e32 v25, s74, v4
	v_and_b32_e32 v26, 1, v25
	v_add_co_u32_e64 v31, s[24:25], -1, v26
	v_lshlrev_b32_e32 v4, 30, v25
	v_addc_co_u32_e64 v33, s[24:25], 0, -1, s[24:25]
	v_mad_u32_u24 v5, v2, s27, v1
	v_cmp_ne_u32_e64 s[24:25], 0, v26
	v_cmp_gt_i64_e64 s[26:27], 0, v[3:4]
	v_not_b32_e32 v26, v4
	v_lshlrev_b32_e32 v4, 29, v25
	v_xor_b32_e32 v33, s25, v33
	v_xor_b32_e32 v31, s24, v31
	v_ashrrev_i32_e32 v26, 31, v26
	v_cmp_gt_i64_e64 s[24:25], 0, v[3:4]
	v_not_b32_e32 v35, v4
	v_lshlrev_b32_e32 v4, 28, v25
	v_and_b32_e32 v33, exec_hi, v33
	v_and_b32_e32 v31, exec_lo, v31
	v_xor_b32_e32 v37, s27, v26
	v_xor_b32_e32 v26, s26, v26
	v_ashrrev_i32_e32 v35, 31, v35
	v_cmp_gt_i64_e64 s[26:27], 0, v[3:4]
	v_not_b32_e32 v39, v4
	v_lshlrev_b32_e32 v4, 27, v25
	v_and_b32_e32 v33, v33, v37
	v_and_b32_e32 v26, v31, v26
	v_xor_b32_e32 v31, s25, v35
	v_xor_b32_e32 v35, s24, v35
	v_ashrrev_i32_e32 v37, 31, v39
	v_cmp_gt_i64_e64 s[24:25], 0, v[3:4]
	v_not_b32_e32 v39, v4
	v_lshlrev_b32_e32 v4, 26, v25
	v_and_b32_e32 v31, v33, v31
	v_and_b32_e32 v26, v26, v35
	;; [unrolled: 8-line block ×3, first 2 shown]
	v_xor_b32_e32 v33, s25, v37
	v_xor_b32_e32 v35, s24, v37
	v_ashrrev_i32_e32 v37, 31, v39
	v_cmp_gt_i64_e64 s[24:25], 0, v[3:4]
	v_not_b32_e32 v39, v4
	v_mul_u32_u24_e32 v30, 20, v25
	v_lshlrev_b32_e32 v4, 24, v25
	v_and_b32_e32 v25, v31, v33
	v_and_b32_e32 v26, v26, v35
	v_xor_b32_e32 v31, s27, v37
	v_xor_b32_e32 v33, s26, v37
	v_ashrrev_i32_e32 v35, 31, v39
	v_and_b32_e32 v25, v25, v31
	v_and_b32_e32 v26, v26, v33
	v_xor_b32_e32 v31, s25, v35
	v_xor_b32_e32 v33, s24, v35
	v_and_b32_e32 v31, v25, v31
	v_and_b32_e32 v33, v26, v33
	v_cmp_gt_i64_e64 s[26:27], 0, v[3:4]
	v_not_b32_e32 v4, v4
	v_ashrrev_i32_e32 v4, 31, v4
	v_xor_b32_e32 v35, s27, v4
	v_xor_b32_e32 v4, s26, v4
	v_and_b32_e32 v4, v33, v4
	v_mul_u32_u24_e32 v22, 20, v0
	ds_write2_b32 v22, v3, v3 offset0:4 offset1:5
	ds_write2_b32 v22, v3, v3 offset0:6 offset1:7
	ds_write_b32 v22, v3 offset:32
	s_waitcnt vmcnt(0) lgkmcnt(0)
	s_barrier
	; wave barrier
	v_mad_u64_u32 v[25:26], s[24:25], v5, v23, v[0:1]
	v_and_b32_e32 v5, v31, v35
	v_cmp_ne_u64_e64 s[24:25], 0, v[4:5]
	v_lshrrev_b32_e32 v23, 4, v25
	v_and_b32_e32 v31, 0xffffffc, v23
	v_mbcnt_lo_u32_b32 v23, v4, 0
	v_mbcnt_hi_u32_b32 v23, v5, v23
	v_cmp_eq_u32_e64 s[26:27], 0, v23
	s_and_b64 s[26:27], s[24:25], s[26:27]
	v_add_u32_e32 v25, v31, v30
	s_and_saveexec_b64 s[24:25], s[26:27]
; %bb.26:
	v_bcnt_u32_b32 v4, v4, 0
	v_bcnt_u32_b32 v4, v5, v4
	ds_write_b32 v25, v4 offset:16
; %bb.27:
	s_or_b64 exec, exec, s[24:25]
	v_lshrrev_b32_e32 v4, s68, v24
	v_and_b32_e32 v5, s74, v4
	v_mad_u32_u24 v4, v5, 20, v31
	; wave barrier
	ds_read_b32 v24, v4 offset:16
	v_and_b32_e32 v4, 1, v5
	v_add_co_u32_e64 v26, s[24:25], -1, v4
	v_addc_co_u32_e64 v33, s[24:25], 0, -1, s[24:25]
	v_cmp_ne_u32_e64 s[24:25], 0, v4
	v_xor_b32_e32 v4, s25, v33
	v_and_b32_e32 v33, exec_hi, v4
	v_lshlrev_b32_e32 v4, 30, v5
	v_xor_b32_e32 v26, s24, v26
	v_cmp_gt_i64_e64 s[24:25], 0, v[3:4]
	v_not_b32_e32 v4, v4
	v_ashrrev_i32_e32 v4, 31, v4
	v_and_b32_e32 v26, exec_lo, v26
	v_xor_b32_e32 v35, s25, v4
	v_xor_b32_e32 v4, s24, v4
	v_and_b32_e32 v26, v26, v4
	v_lshlrev_b32_e32 v4, 29, v5
	v_cmp_gt_i64_e64 s[24:25], 0, v[3:4]
	v_not_b32_e32 v4, v4
	v_ashrrev_i32_e32 v4, 31, v4
	v_and_b32_e32 v33, v33, v35
	v_xor_b32_e32 v35, s25, v4
	v_xor_b32_e32 v4, s24, v4
	v_and_b32_e32 v26, v26, v4
	v_lshlrev_b32_e32 v4, 28, v5
	v_cmp_gt_i64_e64 s[24:25], 0, v[3:4]
	v_not_b32_e32 v4, v4
	v_ashrrev_i32_e32 v4, 31, v4
	v_and_b32_e32 v33, v33, v35
	;; [unrolled: 8-line block ×5, first 2 shown]
	v_xor_b32_e32 v35, s25, v4
	v_xor_b32_e32 v4, s24, v4
	v_and_b32_e32 v26, v26, v4
	v_lshlrev_b32_e32 v4, 24, v5
	v_cmp_gt_i64_e64 s[24:25], 0, v[3:4]
	v_not_b32_e32 v3, v4
	v_ashrrev_i32_e32 v3, 31, v3
	v_xor_b32_e32 v4, s25, v3
	v_xor_b32_e32 v3, s24, v3
	v_and_b32_e32 v33, v33, v35
	v_and_b32_e32 v3, v26, v3
	v_mul_u32_u24_e32 v30, 20, v5
	v_and_b32_e32 v4, v33, v4
	v_mbcnt_lo_u32_b32 v5, v3, 0
	v_mbcnt_hi_u32_b32 v26, v4, v5
	v_cmp_ne_u64_e64 s[24:25], 0, v[3:4]
	v_cmp_eq_u32_e64 s[26:27], 0, v26
	s_and_b64 s[26:27], s[24:25], s[26:27]
	v_add_u32_e32 v30, v31, v30
	; wave barrier
	s_and_saveexec_b64 s[24:25], s[26:27]
	s_cbranch_execz .LBB24_29
; %bb.28:
	v_bcnt_u32_b32 v3, v3, 0
	v_bcnt_u32_b32 v3, v4, v3
	s_waitcnt lgkmcnt(0)
	v_add_u32_e32 v3, v24, v3
	ds_write_b32 v30, v3 offset:16
.LBB24_29:
	s_or_b64 exec, exec, s[24:25]
	v_lshrrev_b32_e32 v3, s68, v27
	v_and_b32_e32 v5, s74, v3
	v_and_b32_e32 v4, 1, v5
	v_add_co_u32_e64 v33, s[24:25], -1, v4
	v_addc_co_u32_e64 v37, s[24:25], 0, -1, s[24:25]
	v_cmp_ne_u32_e64 s[24:25], 0, v4
	v_mad_u32_u24 v3, v5, 20, v31
	v_xor_b32_e32 v4, s25, v37
	; wave barrier
	ds_read_b32 v27, v3 offset:16
	v_mov_b32_e32 v3, 0
	v_and_b32_e32 v37, exec_hi, v4
	v_lshlrev_b32_e32 v4, 30, v5
	v_xor_b32_e32 v33, s24, v33
	v_cmp_gt_i64_e64 s[24:25], 0, v[3:4]
	v_not_b32_e32 v4, v4
	v_ashrrev_i32_e32 v4, 31, v4
	v_and_b32_e32 v33, exec_lo, v33
	v_xor_b32_e32 v39, s25, v4
	v_xor_b32_e32 v4, s24, v4
	v_and_b32_e32 v33, v33, v4
	v_lshlrev_b32_e32 v4, 29, v5
	v_cmp_gt_i64_e64 s[24:25], 0, v[3:4]
	v_not_b32_e32 v4, v4
	v_ashrrev_i32_e32 v4, 31, v4
	v_and_b32_e32 v37, v37, v39
	v_xor_b32_e32 v39, s25, v4
	v_xor_b32_e32 v4, s24, v4
	v_and_b32_e32 v33, v33, v4
	v_lshlrev_b32_e32 v4, 28, v5
	v_cmp_gt_i64_e64 s[24:25], 0, v[3:4]
	v_not_b32_e32 v4, v4
	v_ashrrev_i32_e32 v4, 31, v4
	v_and_b32_e32 v37, v37, v39
	;; [unrolled: 8-line block ×5, first 2 shown]
	v_xor_b32_e32 v39, s25, v4
	v_xor_b32_e32 v4, s24, v4
	v_and_b32_e32 v33, v33, v4
	v_lshlrev_b32_e32 v4, 24, v5
	v_cmp_gt_i64_e64 s[24:25], 0, v[3:4]
	v_not_b32_e32 v4, v4
	v_ashrrev_i32_e32 v4, 31, v4
	v_mul_u32_u24_e32 v35, 20, v5
	v_xor_b32_e32 v5, s25, v4
	v_xor_b32_e32 v4, s24, v4
	v_and_b32_e32 v37, v37, v39
	v_and_b32_e32 v4, v33, v4
	v_and_b32_e32 v5, v37, v5
	v_mbcnt_lo_u32_b32 v33, v4, 0
	v_mbcnt_hi_u32_b32 v33, v5, v33
	v_cmp_ne_u64_e64 s[24:25], 0, v[4:5]
	v_cmp_eq_u32_e64 s[26:27], 0, v33
	s_and_b64 s[26:27], s[24:25], s[26:27]
	v_add_u32_e32 v35, v31, v35
	; wave barrier
	s_and_saveexec_b64 s[24:25], s[26:27]
	s_cbranch_execz .LBB24_31
; %bb.30:
	v_bcnt_u32_b32 v4, v4, 0
	v_bcnt_u32_b32 v4, v5, v4
	s_waitcnt lgkmcnt(0)
	v_add_u32_e32 v4, v27, v4
	ds_write_b32 v35, v4 offset:16
.LBB24_31:
	s_or_b64 exec, exec, s[24:25]
	v_lshrrev_b32_e32 v4, s68, v34
	v_and_b32_e32 v5, s74, v4
	v_mad_u32_u24 v4, v5, 20, v31
	; wave barrier
	ds_read_b32 v34, v4 offset:16
	v_and_b32_e32 v4, 1, v5
	v_add_co_u32_e64 v37, s[24:25], -1, v4
	v_addc_co_u32_e64 v41, s[24:25], 0, -1, s[24:25]
	v_cmp_ne_u32_e64 s[24:25], 0, v4
	v_xor_b32_e32 v4, s25, v41
	v_and_b32_e32 v41, exec_hi, v4
	v_lshlrev_b32_e32 v4, 30, v5
	v_xor_b32_e32 v37, s24, v37
	v_cmp_gt_i64_e64 s[24:25], 0, v[3:4]
	v_not_b32_e32 v4, v4
	v_ashrrev_i32_e32 v4, 31, v4
	v_and_b32_e32 v37, exec_lo, v37
	v_xor_b32_e32 v43, s25, v4
	v_xor_b32_e32 v4, s24, v4
	v_and_b32_e32 v37, v37, v4
	v_lshlrev_b32_e32 v4, 29, v5
	v_cmp_gt_i64_e64 s[24:25], 0, v[3:4]
	v_not_b32_e32 v4, v4
	v_ashrrev_i32_e32 v4, 31, v4
	v_and_b32_e32 v41, v41, v43
	v_xor_b32_e32 v43, s25, v4
	v_xor_b32_e32 v4, s24, v4
	v_and_b32_e32 v37, v37, v4
	v_lshlrev_b32_e32 v4, 28, v5
	v_cmp_gt_i64_e64 s[24:25], 0, v[3:4]
	v_not_b32_e32 v4, v4
	v_ashrrev_i32_e32 v4, 31, v4
	v_and_b32_e32 v41, v41, v43
	v_xor_b32_e32 v43, s25, v4
	v_xor_b32_e32 v4, s24, v4
	v_and_b32_e32 v37, v37, v4
	v_lshlrev_b32_e32 v4, 27, v5
	v_cmp_gt_i64_e64 s[24:25], 0, v[3:4]
	v_not_b32_e32 v4, v4
	v_ashrrev_i32_e32 v4, 31, v4
	v_and_b32_e32 v41, v41, v43
	v_xor_b32_e32 v43, s25, v4
	v_xor_b32_e32 v4, s24, v4
	v_and_b32_e32 v37, v37, v4
	v_lshlrev_b32_e32 v4, 26, v5
	v_cmp_gt_i64_e64 s[24:25], 0, v[3:4]
	v_not_b32_e32 v4, v4
	v_ashrrev_i32_e32 v4, 31, v4
	v_and_b32_e32 v41, v41, v43
	v_xor_b32_e32 v43, s25, v4
	v_xor_b32_e32 v4, s24, v4
	v_and_b32_e32 v37, v37, v4
	v_lshlrev_b32_e32 v4, 25, v5
	v_cmp_gt_i64_e64 s[24:25], 0, v[3:4]
	v_not_b32_e32 v4, v4
	v_ashrrev_i32_e32 v4, 31, v4
	v_and_b32_e32 v41, v41, v43
	v_xor_b32_e32 v43, s25, v4
	v_xor_b32_e32 v4, s24, v4
	v_and_b32_e32 v37, v37, v4
	v_lshlrev_b32_e32 v4, 24, v5
	v_cmp_gt_i64_e64 s[24:25], 0, v[3:4]
	v_not_b32_e32 v3, v4
	v_ashrrev_i32_e32 v3, 31, v3
	v_xor_b32_e32 v4, s25, v3
	v_xor_b32_e32 v3, s24, v3
	v_and_b32_e32 v41, v41, v43
	v_and_b32_e32 v3, v37, v3
	v_mul_u32_u24_e32 v39, 20, v5
	v_and_b32_e32 v4, v41, v4
	v_mbcnt_lo_u32_b32 v5, v3, 0
	v_mbcnt_hi_u32_b32 v37, v4, v5
	v_cmp_ne_u64_e64 s[24:25], 0, v[3:4]
	v_cmp_eq_u32_e64 s[26:27], 0, v37
	s_and_b64 s[26:27], s[24:25], s[26:27]
	v_add_u32_e32 v39, v31, v39
	; wave barrier
	s_and_saveexec_b64 s[24:25], s[26:27]
	s_cbranch_execz .LBB24_33
; %bb.32:
	v_bcnt_u32_b32 v3, v3, 0
	v_bcnt_u32_b32 v3, v4, v3
	s_waitcnt lgkmcnt(0)
	v_add_u32_e32 v3, v34, v3
	ds_write_b32 v39, v3 offset:16
.LBB24_33:
	s_or_b64 exec, exec, s[24:25]
	v_lshrrev_b32_e32 v3, s68, v38
	v_and_b32_e32 v5, s74, v3
	v_and_b32_e32 v4, 1, v5
	v_add_co_u32_e64 v41, s[24:25], -1, v4
	v_addc_co_u32_e64 v45, s[24:25], 0, -1, s[24:25]
	v_cmp_ne_u32_e64 s[24:25], 0, v4
	v_mad_u32_u24 v3, v5, 20, v31
	v_xor_b32_e32 v4, s25, v45
	; wave barrier
	ds_read_b32 v38, v3 offset:16
	v_mov_b32_e32 v3, 0
	v_and_b32_e32 v45, exec_hi, v4
	v_lshlrev_b32_e32 v4, 30, v5
	v_xor_b32_e32 v41, s24, v41
	v_cmp_gt_i64_e64 s[24:25], 0, v[3:4]
	v_not_b32_e32 v4, v4
	v_ashrrev_i32_e32 v4, 31, v4
	v_and_b32_e32 v41, exec_lo, v41
	v_xor_b32_e32 v46, s25, v4
	v_xor_b32_e32 v4, s24, v4
	v_and_b32_e32 v41, v41, v4
	v_lshlrev_b32_e32 v4, 29, v5
	v_cmp_gt_i64_e64 s[24:25], 0, v[3:4]
	v_not_b32_e32 v4, v4
	v_ashrrev_i32_e32 v4, 31, v4
	v_and_b32_e32 v45, v45, v46
	v_xor_b32_e32 v46, s25, v4
	v_xor_b32_e32 v4, s24, v4
	v_and_b32_e32 v41, v41, v4
	v_lshlrev_b32_e32 v4, 28, v5
	v_cmp_gt_i64_e64 s[24:25], 0, v[3:4]
	v_not_b32_e32 v4, v4
	v_ashrrev_i32_e32 v4, 31, v4
	v_and_b32_e32 v45, v45, v46
	;; [unrolled: 8-line block ×5, first 2 shown]
	v_xor_b32_e32 v46, s25, v4
	v_xor_b32_e32 v4, s24, v4
	v_and_b32_e32 v41, v41, v4
	v_lshlrev_b32_e32 v4, 24, v5
	v_cmp_gt_i64_e64 s[24:25], 0, v[3:4]
	v_not_b32_e32 v4, v4
	v_ashrrev_i32_e32 v4, 31, v4
	v_mul_u32_u24_e32 v43, 20, v5
	v_xor_b32_e32 v5, s25, v4
	v_xor_b32_e32 v4, s24, v4
	v_and_b32_e32 v45, v45, v46
	v_and_b32_e32 v4, v41, v4
	;; [unrolled: 1-line block ×3, first 2 shown]
	v_mbcnt_lo_u32_b32 v41, v4, 0
	v_mbcnt_hi_u32_b32 v41, v5, v41
	v_cmp_ne_u64_e64 s[24:25], 0, v[4:5]
	v_cmp_eq_u32_e64 s[26:27], 0, v41
	s_and_b64 s[26:27], s[24:25], s[26:27]
	v_add_u32_e32 v43, v31, v43
	; wave barrier
	s_and_saveexec_b64 s[24:25], s[26:27]
	s_cbranch_execz .LBB24_35
; %bb.34:
	v_bcnt_u32_b32 v4, v4, 0
	v_bcnt_u32_b32 v4, v5, v4
	s_waitcnt lgkmcnt(0)
	v_add_u32_e32 v4, v38, v4
	ds_write_b32 v43, v4 offset:16
.LBB24_35:
	s_or_b64 exec, exec, s[24:25]
	v_lshrrev_b32_e32 v4, s68, v42
	v_and_b32_e32 v5, s74, v4
	v_mad_u32_u24 v4, v5, 20, v31
	; wave barrier
	ds_read_b32 v42, v4 offset:16
	v_and_b32_e32 v4, 1, v5
	v_add_co_u32_e64 v46, s[24:25], -1, v4
	v_addc_co_u32_e64 v47, s[24:25], 0, -1, s[24:25]
	v_cmp_ne_u32_e64 s[24:25], 0, v4
	v_xor_b32_e32 v4, s25, v47
	v_and_b32_e32 v47, exec_hi, v4
	v_lshlrev_b32_e32 v4, 30, v5
	v_xor_b32_e32 v46, s24, v46
	v_cmp_gt_i64_e64 s[24:25], 0, v[3:4]
	v_not_b32_e32 v4, v4
	v_ashrrev_i32_e32 v4, 31, v4
	v_and_b32_e32 v46, exec_lo, v46
	v_xor_b32_e32 v48, s25, v4
	v_xor_b32_e32 v4, s24, v4
	v_and_b32_e32 v46, v46, v4
	v_lshlrev_b32_e32 v4, 29, v5
	v_cmp_gt_i64_e64 s[24:25], 0, v[3:4]
	v_not_b32_e32 v4, v4
	v_ashrrev_i32_e32 v4, 31, v4
	v_and_b32_e32 v47, v47, v48
	v_xor_b32_e32 v48, s25, v4
	v_xor_b32_e32 v4, s24, v4
	v_and_b32_e32 v46, v46, v4
	v_lshlrev_b32_e32 v4, 28, v5
	v_cmp_gt_i64_e64 s[24:25], 0, v[3:4]
	v_not_b32_e32 v4, v4
	v_ashrrev_i32_e32 v4, 31, v4
	v_and_b32_e32 v47, v47, v48
	;; [unrolled: 8-line block ×5, first 2 shown]
	v_xor_b32_e32 v48, s25, v4
	v_xor_b32_e32 v4, s24, v4
	v_and_b32_e32 v46, v46, v4
	v_lshlrev_b32_e32 v4, 24, v5
	v_cmp_gt_i64_e64 s[24:25], 0, v[3:4]
	v_not_b32_e32 v3, v4
	v_ashrrev_i32_e32 v3, 31, v3
	v_xor_b32_e32 v4, s25, v3
	v_xor_b32_e32 v3, s24, v3
	v_and_b32_e32 v47, v47, v48
	v_and_b32_e32 v3, v46, v3
	v_mul_u32_u24_e32 v45, 20, v5
	v_and_b32_e32 v4, v47, v4
	v_mbcnt_lo_u32_b32 v5, v3, 0
	v_mbcnt_hi_u32_b32 v47, v4, v5
	v_cmp_ne_u64_e64 s[24:25], 0, v[3:4]
	v_cmp_eq_u32_e64 s[26:27], 0, v47
	s_and_b64 s[26:27], s[24:25], s[26:27]
	v_add_u32_e32 v45, v31, v45
	; wave barrier
	s_and_saveexec_b64 s[24:25], s[26:27]
	s_cbranch_execz .LBB24_37
; %bb.36:
	v_bcnt_u32_b32 v3, v3, 0
	v_bcnt_u32_b32 v3, v4, v3
	s_waitcnt lgkmcnt(0)
	v_add_u32_e32 v3, v42, v3
	ds_write_b32 v45, v3 offset:16
.LBB24_37:
	s_or_b64 exec, exec, s[24:25]
	v_lshrrev_b32_e32 v3, s68, v44
	v_and_b32_e32 v5, s74, v3
	v_and_b32_e32 v4, 1, v5
	v_add_co_u32_e64 v46, s[24:25], -1, v4
	v_addc_co_u32_e64 v49, s[24:25], 0, -1, s[24:25]
	v_cmp_ne_u32_e64 s[24:25], 0, v4
	v_mad_u32_u24 v3, v5, 20, v31
	v_xor_b32_e32 v4, s25, v49
	; wave barrier
	ds_read_b32 v48, v3 offset:16
	v_mov_b32_e32 v3, 0
	v_and_b32_e32 v49, exec_hi, v4
	v_lshlrev_b32_e32 v4, 30, v5
	v_xor_b32_e32 v46, s24, v46
	v_cmp_gt_i64_e64 s[24:25], 0, v[3:4]
	v_not_b32_e32 v4, v4
	v_ashrrev_i32_e32 v4, 31, v4
	v_and_b32_e32 v46, exec_lo, v46
	v_xor_b32_e32 v50, s25, v4
	v_xor_b32_e32 v4, s24, v4
	v_and_b32_e32 v46, v46, v4
	v_lshlrev_b32_e32 v4, 29, v5
	v_cmp_gt_i64_e64 s[24:25], 0, v[3:4]
	v_not_b32_e32 v4, v4
	v_ashrrev_i32_e32 v4, 31, v4
	v_and_b32_e32 v49, v49, v50
	v_xor_b32_e32 v50, s25, v4
	v_xor_b32_e32 v4, s24, v4
	v_and_b32_e32 v46, v46, v4
	v_lshlrev_b32_e32 v4, 28, v5
	v_cmp_gt_i64_e64 s[24:25], 0, v[3:4]
	v_not_b32_e32 v4, v4
	v_ashrrev_i32_e32 v4, 31, v4
	v_and_b32_e32 v49, v49, v50
	;; [unrolled: 8-line block ×5, first 2 shown]
	v_xor_b32_e32 v50, s25, v4
	v_xor_b32_e32 v4, s24, v4
	v_and_b32_e32 v46, v46, v4
	v_lshlrev_b32_e32 v4, 24, v5
	v_cmp_gt_i64_e64 s[24:25], 0, v[3:4]
	v_not_b32_e32 v4, v4
	v_ashrrev_i32_e32 v4, 31, v4
	v_mul_u32_u24_e32 v44, 20, v5
	v_xor_b32_e32 v5, s25, v4
	v_xor_b32_e32 v4, s24, v4
	v_and_b32_e32 v49, v49, v50
	v_and_b32_e32 v4, v46, v4
	;; [unrolled: 1-line block ×3, first 2 shown]
	v_mbcnt_lo_u32_b32 v46, v4, 0
	v_mbcnt_hi_u32_b32 v49, v5, v46
	v_cmp_ne_u64_e64 s[24:25], 0, v[4:5]
	v_cmp_eq_u32_e64 s[26:27], 0, v49
	s_and_b64 s[26:27], s[24:25], s[26:27]
	v_add_u32_e32 v44, v31, v44
	; wave barrier
	s_and_saveexec_b64 s[24:25], s[26:27]
	s_cbranch_execz .LBB24_39
; %bb.38:
	v_bcnt_u32_b32 v4, v4, 0
	v_bcnt_u32_b32 v4, v5, v4
	s_waitcnt lgkmcnt(0)
	v_add_u32_e32 v4, v48, v4
	ds_write_b32 v44, v4 offset:16
.LBB24_39:
	s_or_b64 exec, exec, s[24:25]
	v_lshrrev_b32_e32 v4, s68, v40
	v_and_b32_e32 v5, s74, v4
	v_mad_u32_u24 v4, v5, 20, v31
	; wave barrier
	ds_read_b32 v50, v4 offset:16
	v_and_b32_e32 v4, 1, v5
	v_add_co_u32_e64 v46, s[24:25], -1, v4
	v_addc_co_u32_e64 v51, s[24:25], 0, -1, s[24:25]
	v_cmp_ne_u32_e64 s[24:25], 0, v4
	v_xor_b32_e32 v4, s25, v51
	v_and_b32_e32 v51, exec_hi, v4
	v_lshlrev_b32_e32 v4, 30, v5
	v_xor_b32_e32 v46, s24, v46
	v_cmp_gt_i64_e64 s[24:25], 0, v[3:4]
	v_not_b32_e32 v4, v4
	v_ashrrev_i32_e32 v4, 31, v4
	v_and_b32_e32 v46, exec_lo, v46
	v_xor_b32_e32 v52, s25, v4
	v_xor_b32_e32 v4, s24, v4
	v_and_b32_e32 v46, v46, v4
	v_lshlrev_b32_e32 v4, 29, v5
	v_cmp_gt_i64_e64 s[24:25], 0, v[3:4]
	v_not_b32_e32 v4, v4
	v_ashrrev_i32_e32 v4, 31, v4
	v_and_b32_e32 v51, v51, v52
	v_xor_b32_e32 v52, s25, v4
	v_xor_b32_e32 v4, s24, v4
	v_and_b32_e32 v46, v46, v4
	v_lshlrev_b32_e32 v4, 28, v5
	v_cmp_gt_i64_e64 s[24:25], 0, v[3:4]
	v_not_b32_e32 v4, v4
	v_ashrrev_i32_e32 v4, 31, v4
	v_and_b32_e32 v51, v51, v52
	;; [unrolled: 8-line block ×5, first 2 shown]
	v_xor_b32_e32 v52, s25, v4
	v_xor_b32_e32 v4, s24, v4
	v_and_b32_e32 v46, v46, v4
	v_lshlrev_b32_e32 v4, 24, v5
	v_cmp_gt_i64_e64 s[24:25], 0, v[3:4]
	v_not_b32_e32 v3, v4
	v_ashrrev_i32_e32 v3, 31, v3
	v_xor_b32_e32 v4, s25, v3
	v_xor_b32_e32 v3, s24, v3
	v_and_b32_e32 v51, v51, v52
	v_and_b32_e32 v3, v46, v3
	v_mul_u32_u24_e32 v40, 20, v5
	v_and_b32_e32 v4, v51, v4
	v_mbcnt_lo_u32_b32 v5, v3, 0
	v_mbcnt_hi_u32_b32 v51, v4, v5
	v_cmp_ne_u64_e64 s[24:25], 0, v[3:4]
	v_cmp_eq_u32_e64 s[26:27], 0, v51
	s_and_b64 s[26:27], s[24:25], s[26:27]
	v_add_u32_e32 v40, v31, v40
	; wave barrier
	s_and_saveexec_b64 s[24:25], s[26:27]
	s_cbranch_execz .LBB24_41
; %bb.40:
	v_bcnt_u32_b32 v3, v3, 0
	v_bcnt_u32_b32 v3, v4, v3
	s_waitcnt lgkmcnt(0)
	v_add_u32_e32 v3, v50, v3
	ds_write_b32 v40, v3 offset:16
.LBB24_41:
	s_or_b64 exec, exec, s[24:25]
	v_lshrrev_b32_e32 v3, s68, v36
	v_and_b32_e32 v5, s74, v3
	v_and_b32_e32 v4, 1, v5
	v_add_co_u32_e64 v52, s[24:25], -1, v4
	v_addc_co_u32_e64 v53, s[24:25], 0, -1, s[24:25]
	v_cmp_ne_u32_e64 s[24:25], 0, v4
	v_mad_u32_u24 v3, v5, 20, v31
	v_xor_b32_e32 v4, s25, v53
	; wave barrier
	ds_read_b32 v36, v3 offset:16
	v_mov_b32_e32 v3, 0
	v_and_b32_e32 v53, exec_hi, v4
	v_lshlrev_b32_e32 v4, 30, v5
	v_xor_b32_e32 v52, s24, v52
	v_cmp_gt_i64_e64 s[24:25], 0, v[3:4]
	v_not_b32_e32 v4, v4
	v_ashrrev_i32_e32 v4, 31, v4
	v_and_b32_e32 v52, exec_lo, v52
	v_xor_b32_e32 v54, s25, v4
	v_xor_b32_e32 v4, s24, v4
	v_and_b32_e32 v52, v52, v4
	v_lshlrev_b32_e32 v4, 29, v5
	v_cmp_gt_i64_e64 s[24:25], 0, v[3:4]
	v_not_b32_e32 v4, v4
	v_ashrrev_i32_e32 v4, 31, v4
	v_and_b32_e32 v53, v53, v54
	v_xor_b32_e32 v54, s25, v4
	v_xor_b32_e32 v4, s24, v4
	v_and_b32_e32 v52, v52, v4
	v_lshlrev_b32_e32 v4, 28, v5
	v_cmp_gt_i64_e64 s[24:25], 0, v[3:4]
	v_not_b32_e32 v4, v4
	v_ashrrev_i32_e32 v4, 31, v4
	v_and_b32_e32 v53, v53, v54
	;; [unrolled: 8-line block ×5, first 2 shown]
	v_xor_b32_e32 v54, s25, v4
	v_xor_b32_e32 v4, s24, v4
	v_and_b32_e32 v52, v52, v4
	v_lshlrev_b32_e32 v4, 24, v5
	v_cmp_gt_i64_e64 s[24:25], 0, v[3:4]
	v_not_b32_e32 v4, v4
	v_ashrrev_i32_e32 v4, 31, v4
	v_mul_u32_u24_e32 v46, 20, v5
	v_xor_b32_e32 v5, s25, v4
	v_xor_b32_e32 v4, s24, v4
	v_and_b32_e32 v53, v53, v54
	v_and_b32_e32 v4, v52, v4
	;; [unrolled: 1-line block ×3, first 2 shown]
	v_mbcnt_lo_u32_b32 v52, v4, 0
	v_mbcnt_hi_u32_b32 v52, v5, v52
	v_cmp_ne_u64_e64 s[24:25], 0, v[4:5]
	v_cmp_eq_u32_e64 s[26:27], 0, v52
	s_and_b64 s[26:27], s[24:25], s[26:27]
	v_add_u32_e32 v46, v31, v46
	; wave barrier
	s_and_saveexec_b64 s[24:25], s[26:27]
	s_cbranch_execz .LBB24_43
; %bb.42:
	v_bcnt_u32_b32 v4, v4, 0
	v_bcnt_u32_b32 v4, v5, v4
	s_waitcnt lgkmcnt(0)
	v_add_u32_e32 v4, v36, v4
	ds_write_b32 v46, v4 offset:16
.LBB24_43:
	s_or_b64 exec, exec, s[24:25]
	v_lshrrev_b32_e32 v4, s68, v32
	v_and_b32_e32 v5, s74, v4
	v_mad_u32_u24 v4, v5, 20, v31
	; wave barrier
	ds_read_b32 v32, v4 offset:16
	v_and_b32_e32 v4, 1, v5
	v_add_co_u32_e64 v53, s[24:25], -1, v4
	v_addc_co_u32_e64 v55, s[24:25], 0, -1, s[24:25]
	v_cmp_ne_u32_e64 s[24:25], 0, v4
	v_xor_b32_e32 v4, s25, v55
	v_and_b32_e32 v55, exec_hi, v4
	v_lshlrev_b32_e32 v4, 30, v5
	v_xor_b32_e32 v53, s24, v53
	v_cmp_gt_i64_e64 s[24:25], 0, v[3:4]
	v_not_b32_e32 v4, v4
	v_ashrrev_i32_e32 v4, 31, v4
	v_and_b32_e32 v53, exec_lo, v53
	v_xor_b32_e32 v56, s25, v4
	v_xor_b32_e32 v4, s24, v4
	v_and_b32_e32 v53, v53, v4
	v_lshlrev_b32_e32 v4, 29, v5
	v_cmp_gt_i64_e64 s[24:25], 0, v[3:4]
	v_not_b32_e32 v4, v4
	v_ashrrev_i32_e32 v4, 31, v4
	v_and_b32_e32 v55, v55, v56
	v_xor_b32_e32 v56, s25, v4
	v_xor_b32_e32 v4, s24, v4
	v_and_b32_e32 v53, v53, v4
	v_lshlrev_b32_e32 v4, 28, v5
	v_cmp_gt_i64_e64 s[24:25], 0, v[3:4]
	v_not_b32_e32 v4, v4
	v_ashrrev_i32_e32 v4, 31, v4
	v_and_b32_e32 v55, v55, v56
	;; [unrolled: 8-line block ×5, first 2 shown]
	v_xor_b32_e32 v56, s25, v4
	v_xor_b32_e32 v4, s24, v4
	v_and_b32_e32 v53, v53, v4
	v_lshlrev_b32_e32 v4, 24, v5
	v_cmp_gt_i64_e64 s[24:25], 0, v[3:4]
	v_not_b32_e32 v3, v4
	v_ashrrev_i32_e32 v3, 31, v3
	v_xor_b32_e32 v4, s25, v3
	v_xor_b32_e32 v3, s24, v3
	v_and_b32_e32 v55, v55, v56
	v_and_b32_e32 v3, v53, v3
	v_mul_u32_u24_e32 v54, 20, v5
	v_and_b32_e32 v4, v55, v4
	v_mbcnt_lo_u32_b32 v5, v3, 0
	v_mbcnt_hi_u32_b32 v53, v4, v5
	v_cmp_ne_u64_e64 s[24:25], 0, v[3:4]
	v_cmp_eq_u32_e64 s[26:27], 0, v53
	s_and_b64 s[26:27], s[24:25], s[26:27]
	v_add_u32_e32 v54, v31, v54
	; wave barrier
	s_and_saveexec_b64 s[24:25], s[26:27]
	s_cbranch_execz .LBB24_45
; %bb.44:
	v_bcnt_u32_b32 v3, v3, 0
	v_bcnt_u32_b32 v3, v4, v3
	s_waitcnt lgkmcnt(0)
	v_add_u32_e32 v3, v32, v3
	ds_write_b32 v54, v3 offset:16
.LBB24_45:
	s_or_b64 exec, exec, s[24:25]
	v_lshrrev_b32_e32 v3, s68, v28
	v_and_b32_e32 v5, s74, v3
	v_and_b32_e32 v4, 1, v5
	v_add_co_u32_e64 v55, s[24:25], -1, v4
	v_addc_co_u32_e64 v57, s[24:25], 0, -1, s[24:25]
	v_cmp_ne_u32_e64 s[24:25], 0, v4
	v_mad_u32_u24 v3, v5, 20, v31
	v_xor_b32_e32 v4, s25, v57
	; wave barrier
	ds_read_b32 v28, v3 offset:16
	v_mov_b32_e32 v3, 0
	v_and_b32_e32 v57, exec_hi, v4
	v_lshlrev_b32_e32 v4, 30, v5
	v_xor_b32_e32 v55, s24, v55
	v_cmp_gt_i64_e64 s[24:25], 0, v[3:4]
	v_not_b32_e32 v4, v4
	v_ashrrev_i32_e32 v4, 31, v4
	v_and_b32_e32 v55, exec_lo, v55
	v_xor_b32_e32 v58, s25, v4
	v_xor_b32_e32 v4, s24, v4
	v_and_b32_e32 v55, v55, v4
	v_lshlrev_b32_e32 v4, 29, v5
	v_cmp_gt_i64_e64 s[24:25], 0, v[3:4]
	v_not_b32_e32 v4, v4
	v_ashrrev_i32_e32 v4, 31, v4
	v_and_b32_e32 v57, v57, v58
	v_xor_b32_e32 v58, s25, v4
	v_xor_b32_e32 v4, s24, v4
	v_and_b32_e32 v55, v55, v4
	v_lshlrev_b32_e32 v4, 28, v5
	v_cmp_gt_i64_e64 s[24:25], 0, v[3:4]
	v_not_b32_e32 v4, v4
	v_ashrrev_i32_e32 v4, 31, v4
	v_and_b32_e32 v57, v57, v58
	;; [unrolled: 8-line block ×5, first 2 shown]
	v_xor_b32_e32 v58, s25, v4
	v_xor_b32_e32 v4, s24, v4
	v_and_b32_e32 v55, v55, v4
	v_lshlrev_b32_e32 v4, 24, v5
	v_cmp_gt_i64_e64 s[24:25], 0, v[3:4]
	v_not_b32_e32 v4, v4
	v_ashrrev_i32_e32 v4, 31, v4
	v_mul_u32_u24_e32 v56, 20, v5
	v_xor_b32_e32 v5, s25, v4
	v_xor_b32_e32 v4, s24, v4
	v_and_b32_e32 v57, v57, v58
	v_and_b32_e32 v4, v55, v4
	;; [unrolled: 1-line block ×3, first 2 shown]
	v_mbcnt_lo_u32_b32 v55, v4, 0
	v_mbcnt_hi_u32_b32 v55, v5, v55
	v_cmp_ne_u64_e64 s[24:25], 0, v[4:5]
	v_cmp_eq_u32_e64 s[26:27], 0, v55
	s_and_b64 s[26:27], s[24:25], s[26:27]
	v_add_u32_e32 v57, v31, v56
	; wave barrier
	s_and_saveexec_b64 s[24:25], s[26:27]
	s_cbranch_execz .LBB24_47
; %bb.46:
	v_bcnt_u32_b32 v4, v4, 0
	v_bcnt_u32_b32 v4, v5, v4
	s_waitcnt lgkmcnt(0)
	v_add_u32_e32 v4, v28, v4
	ds_write_b32 v57, v4 offset:16
.LBB24_47:
	s_or_b64 exec, exec, s[24:25]
	v_lshrrev_b32_e32 v4, s68, v6
	v_and_b32_e32 v5, s74, v4
	v_mad_u32_u24 v4, v5, 20, v31
	; wave barrier
	ds_read_b32 v56, v4 offset:16
	v_and_b32_e32 v4, 1, v5
	v_add_co_u32_e64 v58, s[24:25], -1, v4
	v_addc_co_u32_e64 v59, s[24:25], 0, -1, s[24:25]
	v_cmp_ne_u32_e64 s[24:25], 0, v4
	v_xor_b32_e32 v4, s25, v59
	v_and_b32_e32 v59, exec_hi, v4
	v_lshlrev_b32_e32 v4, 30, v5
	v_xor_b32_e32 v58, s24, v58
	v_cmp_gt_i64_e64 s[24:25], 0, v[3:4]
	v_not_b32_e32 v4, v4
	v_ashrrev_i32_e32 v4, 31, v4
	v_and_b32_e32 v58, exec_lo, v58
	v_xor_b32_e32 v60, s25, v4
	v_xor_b32_e32 v4, s24, v4
	v_and_b32_e32 v58, v58, v4
	v_lshlrev_b32_e32 v4, 29, v5
	v_cmp_gt_i64_e64 s[24:25], 0, v[3:4]
	v_not_b32_e32 v4, v4
	v_ashrrev_i32_e32 v4, 31, v4
	v_and_b32_e32 v59, v59, v60
	v_xor_b32_e32 v60, s25, v4
	v_xor_b32_e32 v4, s24, v4
	v_and_b32_e32 v58, v58, v4
	v_lshlrev_b32_e32 v4, 28, v5
	v_cmp_gt_i64_e64 s[24:25], 0, v[3:4]
	v_not_b32_e32 v4, v4
	v_ashrrev_i32_e32 v4, 31, v4
	v_and_b32_e32 v59, v59, v60
	;; [unrolled: 8-line block ×5, first 2 shown]
	v_xor_b32_e32 v60, s25, v4
	v_xor_b32_e32 v4, s24, v4
	v_and_b32_e32 v58, v58, v4
	v_lshlrev_b32_e32 v4, 24, v5
	v_cmp_gt_i64_e64 s[24:25], 0, v[3:4]
	v_not_b32_e32 v3, v4
	v_ashrrev_i32_e32 v3, 31, v3
	v_xor_b32_e32 v4, s25, v3
	v_xor_b32_e32 v3, s24, v3
	v_and_b32_e32 v59, v59, v60
	v_and_b32_e32 v3, v58, v3
	v_mul_u32_u24_e32 v6, 20, v5
	v_and_b32_e32 v4, v59, v4
	v_mbcnt_lo_u32_b32 v5, v3, 0
	v_mbcnt_hi_u32_b32 v58, v4, v5
	v_cmp_ne_u64_e64 s[24:25], 0, v[3:4]
	v_cmp_eq_u32_e64 s[26:27], 0, v58
	s_and_b64 s[26:27], s[24:25], s[26:27]
	v_add_u32_e32 v31, v31, v6
	; wave barrier
	s_and_saveexec_b64 s[24:25], s[26:27]
	s_cbranch_execz .LBB24_49
; %bb.48:
	v_bcnt_u32_b32 v3, v3, 0
	v_bcnt_u32_b32 v3, v4, v3
	s_waitcnt lgkmcnt(0)
	v_add_u32_e32 v3, v56, v3
	ds_write_b32 v31, v3 offset:16
.LBB24_49:
	s_or_b64 exec, exec, s[24:25]
	; wave barrier
	s_waitcnt lgkmcnt(0)
	s_barrier
	ds_read2_b32 v[5:6], v22 offset0:4 offset1:5
	ds_read2_b32 v[3:4], v22 offset0:6 offset1:7
	ds_read_b32 v59, v22 offset:32
	v_min_u32_e32 v17, 0xc0, v17
	v_or_b32_e32 v17, 63, v17
	s_waitcnt lgkmcnt(1)
	v_add3_u32 v60, v6, v5, v3
	s_waitcnt lgkmcnt(0)
	v_add3_u32 v59, v60, v4, v59
	v_and_b32_e32 v60, 15, v9
	v_cmp_ne_u32_e64 s[24:25], 0, v60
	v_mov_b32_dpp v61, v59 row_shr:1 row_mask:0xf bank_mask:0xf
	v_cndmask_b32_e64 v61, 0, v61, s[24:25]
	v_add_u32_e32 v59, v61, v59
	v_cmp_lt_u32_e64 s[24:25], 1, v60
	s_nop 0
	v_mov_b32_dpp v61, v59 row_shr:2 row_mask:0xf bank_mask:0xf
	v_cndmask_b32_e64 v61, 0, v61, s[24:25]
	v_add_u32_e32 v59, v59, v61
	v_cmp_lt_u32_e64 s[24:25], 3, v60
	s_nop 0
	v_mov_b32_dpp v61, v59 row_shr:4 row_mask:0xf bank_mask:0xf
	v_cndmask_b32_e64 v61, 0, v61, s[24:25]
	v_add_u32_e32 v59, v59, v61
	v_cmp_lt_u32_e64 s[24:25], 7, v60
	s_nop 0
	v_mov_b32_dpp v61, v59 row_shr:8 row_mask:0xf bank_mask:0xf
	v_cndmask_b32_e64 v60, 0, v61, s[24:25]
	v_add_u32_e32 v59, v59, v60
	v_bfe_i32 v61, v9, 4, 1
	v_cmp_lt_u32_e64 s[24:25], 31, v9
	v_mov_b32_dpp v60, v59 row_bcast:15 row_mask:0xf bank_mask:0xf
	v_and_b32_e32 v60, v61, v60
	v_add_u32_e32 v59, v59, v60
	s_nop 1
	v_mov_b32_dpp v60, v59 row_bcast:31 row_mask:0xf bank_mask:0xf
	v_cndmask_b32_e64 v60, 0, v60, s[24:25]
	v_add_u32_e32 v59, v59, v60
	v_lshrrev_b32_e32 v60, 6, v0
	v_cmp_eq_u32_e64 s[24:25], v0, v17
	s_and_saveexec_b64 s[26:27], s[24:25]
; %bb.50:
	v_lshlrev_b32_e32 v17, 2, v60
	ds_write_b32 v17, v59
; %bb.51:
	s_or_b64 exec, exec, s[26:27]
	v_cmp_gt_u32_e64 s[24:25], 4, v0
	s_waitcnt lgkmcnt(0)
	s_barrier
	s_and_saveexec_b64 s[26:27], s[24:25]
	s_cbranch_execz .LBB24_53
; %bb.52:
	v_lshlrev_b32_e32 v17, 2, v0
	ds_read_b32 v61, v17
	v_and_b32_e32 v62, 3, v9
	v_cmp_ne_u32_e64 s[24:25], 0, v62
	s_waitcnt lgkmcnt(0)
	v_mov_b32_dpp v63, v61 row_shr:1 row_mask:0xf bank_mask:0xf
	v_cndmask_b32_e64 v63, 0, v63, s[24:25]
	v_add_u32_e32 v61, v63, v61
	v_cmp_lt_u32_e64 s[24:25], 1, v62
	s_nop 0
	v_mov_b32_dpp v63, v61 row_shr:2 row_mask:0xf bank_mask:0xf
	v_cndmask_b32_e64 v62, 0, v63, s[24:25]
	v_add_u32_e32 v61, v61, v62
	ds_write_b32 v17, v61
.LBB24_53:
	s_or_b64 exec, exec, s[26:27]
	v_cmp_lt_u32_e64 s[24:25], 63, v0
	v_mov_b32_e32 v17, 0
	s_waitcnt lgkmcnt(0)
	s_barrier
	s_and_saveexec_b64 s[26:27], s[24:25]
; %bb.54:
	v_lshl_add_u32 v17, v60, 2, -4
	ds_read_b32 v17, v17
; %bb.55:
	s_or_b64 exec, exec, s[26:27]
	v_add_u32_e32 v60, -1, v9
	v_and_b32_e32 v61, 64, v9
	v_cmp_lt_i32_e64 s[24:25], v60, v61
	v_cndmask_b32_e64 v60, v60, v9, s[24:25]
	s_waitcnt lgkmcnt(0)
	v_add_u32_e32 v59, v17, v59
	v_lshlrev_b32_e32 v60, 2, v60
	ds_bpermute_b32 v59, v60, v59
	v_cmp_eq_u32_e64 s[24:25], 0, v9
	s_waitcnt lgkmcnt(0)
	v_cndmask_b32_e64 v17, v59, v17, s[24:25]
	v_cmp_ne_u32_e64 s[24:25], 0, v0
	v_cndmask_b32_e64 v17, 0, v17, s[24:25]
	v_add_u32_e32 v5, v17, v5
	v_add_u32_e32 v6, v5, v6
	;; [unrolled: 1-line block ×4, first 2 shown]
	ds_write2_b32 v22, v17, v5 offset0:4 offset1:5
	ds_write2_b32 v22, v6, v3 offset0:6 offset1:7
	ds_write_b32 v22, v4 offset:32
	s_waitcnt lgkmcnt(0)
	s_barrier
	ds_read_b32 v4, v25 offset:16
	ds_read_b32 v5, v30 offset:16
	;; [unrolled: 1-line block ×13, first 2 shown]
	v_add_u32_e32 v22, 1, v0
	s_movk_i32 s24, 0x100
	v_cmp_ne_u32_e64 s[24:25], s24, v22
	v_mov_b32_e32 v3, 0xc00
	s_and_saveexec_b64 s[26:27], s[24:25]
; %bb.56:
	v_mul_u32_u24_e32 v3, 20, v22
	ds_read_b32 v3, v3 offset:16
; %bb.57:
	s_or_b64 exec, exec, s[26:27]
	s_waitcnt lgkmcnt(12)
	v_add_u32_e32 v46, v4, v23
	s_waitcnt lgkmcnt(11)
	v_add3_u32 v45, v26, v24, v5
	v_lshlrev_b32_e32 v4, 1, v46
	s_waitcnt lgkmcnt(10)
	v_add3_u32 v44, v33, v27, v6
	s_waitcnt lgkmcnt(0)
	s_barrier
	ds_write_b16 v4, v8 offset:2048
	v_lshlrev_b32_e32 v4, 1, v45
	v_add3_u32 v43, v37, v34, v17
	ds_write_b16 v4, v7 offset:2048
	v_lshlrev_b32_e32 v4, 1, v44
	v_add3_u32 v40, v41, v38, v25
	;; [unrolled: 3-line block ×9, first 2 shown]
	ds_write_b16 v4, v18 offset:2048
	v_lshlrev_b32_e32 v4, 1, v34
	ds_write_b16 v4, v21 offset:2048
	v_lshlrev_b32_e32 v4, 1, v33
	ds_write_b16 v4, v20 offset:2048
	v_sub_u32_e32 v31, v3, v30
	v_lshl_or_b32 v3, s6, 8, v0
	v_mov_b32_e32 v4, 0
	v_lshlrev_b64 v[5:6], 2, v[3:4]
	v_mov_b32_e32 v11, s73
	v_add_co_u32_e64 v5, s[24:25], s72, v5
	v_addc_co_u32_e64 v6, s[24:25], v11, v6, s[24:25]
	v_or_b32_e32 v3, 2.0, v31
	s_mov_b64 s[26:27], 0
	s_brev_b32 s34, -4
	s_mov_b32 s35, s7
	v_mov_b32_e32 v12, 0
	s_waitcnt lgkmcnt(0)
	s_barrier
	global_store_dword v[5:6], v3, off
                                        ; implicit-def: $sgpr24_sgpr25
	s_branch .LBB24_60
.LBB24_58:                              ;   in Loop: Header=BB24_60 Depth=1
	s_or_b64 exec, exec, s[30:31]
.LBB24_59:                              ;   in Loop: Header=BB24_60 Depth=1
	s_or_b64 exec, exec, s[28:29]
	v_and_b32_e32 v7, 0x3fffffff, v3
	v_add_u32_e32 v12, v7, v12
	v_cmp_gt_i32_e64 s[24:25], -2.0, v3
	s_and_b64 s[28:29], exec, s[24:25]
	s_or_b64 s[26:27], s[28:29], s[26:27]
	s_andn2_b64 exec, exec, s[26:27]
	s_cbranch_execz .LBB24_65
.LBB24_60:                              ; =>This Loop Header: Depth=1
                                        ;     Child Loop BB24_63 Depth 2
	s_or_b64 s[24:25], s[24:25], exec
	s_cmp_eq_u32 s35, 0
	s_cbranch_scc1 .LBB24_64
; %bb.61:                               ;   in Loop: Header=BB24_60 Depth=1
	s_add_i32 s35, s35, -1
	v_lshl_or_b32 v3, s35, 8, v0
	v_lshlrev_b64 v[7:8], 2, v[3:4]
	v_add_co_u32_e64 v7, s[24:25], s72, v7
	v_addc_co_u32_e64 v8, s[24:25], v11, v8, s[24:25]
	global_load_dword v3, v[7:8], off glc
	s_waitcnt vmcnt(0)
	v_cmp_gt_u32_e64 s[24:25], 2.0, v3
	s_and_saveexec_b64 s[28:29], s[24:25]
	s_cbranch_execz .LBB24_59
; %bb.62:                               ;   in Loop: Header=BB24_60 Depth=1
	s_mov_b64 s[30:31], 0
.LBB24_63:                              ;   Parent Loop BB24_60 Depth=1
                                        ; =>  This Inner Loop Header: Depth=2
	global_load_dword v3, v[7:8], off glc
	s_waitcnt vmcnt(0)
	v_cmp_lt_u32_e64 s[24:25], s34, v3
	s_or_b64 s[30:31], s[24:25], s[30:31]
	s_andn2_b64 exec, exec, s[30:31]
	s_cbranch_execnz .LBB24_63
	s_branch .LBB24_58
.LBB24_64:                              ;   in Loop: Header=BB24_60 Depth=1
                                        ; implicit-def: $sgpr35
	s_and_b64 s[28:29], exec, s[24:25]
	s_or_b64 s[26:27], s[28:29], s[26:27]
	s_andn2_b64 exec, exec, s[26:27]
	s_cbranch_execnz .LBB24_60
.LBB24_65:
	s_or_b64 exec, exec, s[26:27]
	v_add_u32_e32 v3, v12, v31
	v_or_b32_e32 v3, 0x80000000, v3
	v_lshlrev_b32_e32 v32, 3, v0
	global_store_dword v[5:6], v3, off
	global_load_dwordx2 v[3:4], v32, s[64:65]
	v_sub_co_u32_e64 v5, s[24:25], v12, v30
	v_subb_co_u32_e64 v6, s[24:25], 0, 0, s[24:25]
	s_waitcnt vmcnt(0)
	v_add_co_u32_e64 v3, s[24:25], v5, v3
	v_addc_co_u32_e64 v4, s[24:25], v6, v4, s[24:25]
	v_cmp_gt_u32_e64 s[24:25], s70, v0
	ds_write_b64 v32, v[3:4]
	s_waitcnt lgkmcnt(0)
	s_barrier
	s_and_saveexec_b64 s[28:29], s[24:25]
	s_cbranch_execz .LBB24_67
; %bb.66:
	v_mad_i32_i24 v3, v0, -6, v32
	ds_read_u16 v5, v3 offset:2048
	v_mov_b32_e32 v6, s59
	v_lshlrev_b32_e32 v7, 1, v0
	s_waitcnt lgkmcnt(0)
	v_lshrrev_b32_sdwa v3, s68, v5 dst_sel:DWORD dst_unused:UNUSED_PAD src0_sel:DWORD src1_sel:WORD_0
	v_and_b32_e32 v3, s74, v3
	v_lshlrev_b32_e32 v3, 3, v3
	ds_read_b64 v[3:4], v3
	s_waitcnt lgkmcnt(0)
	v_lshlrev_b64 v[3:4], 1, v[3:4]
	v_add_co_u32_e64 v3, s[26:27], s58, v3
	v_addc_co_u32_e64 v4, s[26:27], v6, v4, s[26:27]
	v_add_co_u32_e64 v3, s[26:27], v3, v7
	v_addc_co_u32_e64 v4, s[26:27], 0, v4, s[26:27]
	global_store_short v[3:4], v5, off
.LBB24_67:
	s_or_b64 exec, exec, s[28:29]
	v_or_b32_e32 v3, 0x100, v0
	v_cmp_gt_u32_e64 s[26:27], s70, v3
	s_and_saveexec_b64 s[30:31], s[26:27]
	s_cbranch_execz .LBB24_69
; %bb.68:
	v_mad_i32_i24 v3, v0, -6, v32
	ds_read_u16 v5, v3 offset:2560
	v_mov_b32_e32 v6, s59
	v_lshlrev_b32_e32 v7, 1, v0
	s_waitcnt lgkmcnt(0)
	v_lshrrev_b32_sdwa v3, s68, v5 dst_sel:DWORD dst_unused:UNUSED_PAD src0_sel:DWORD src1_sel:WORD_0
	v_and_b32_e32 v3, s74, v3
	v_lshlrev_b32_e32 v3, 3, v3
	ds_read_b64 v[3:4], v3
	s_waitcnt lgkmcnt(0)
	v_lshlrev_b64 v[3:4], 1, v[3:4]
	v_add_co_u32_e64 v3, s[28:29], s58, v3
	v_addc_co_u32_e64 v4, s[28:29], v6, v4, s[28:29]
	v_add_co_u32_e64 v3, s[28:29], v3, v7
	v_addc_co_u32_e64 v4, s[28:29], 0, v4, s[28:29]
	global_store_short v[3:4], v5, off offset:512
.LBB24_69:
	s_or_b64 exec, exec, s[30:31]
	v_or_b32_e32 v41, 0x200, v0
	v_cmp_gt_u32_e64 s[28:29], s70, v41
	s_and_saveexec_b64 s[34:35], s[28:29]
	s_cbranch_execz .LBB24_71
; %bb.70:
	v_mad_i32_i24 v3, v0, -6, v32
	ds_read_u16 v5, v3 offset:3072
	v_mov_b32_e32 v6, s59
	v_lshlrev_b32_e32 v7, 1, v0
	s_waitcnt lgkmcnt(0)
	v_lshrrev_b32_sdwa v3, s68, v5 dst_sel:DWORD dst_unused:UNUSED_PAD src0_sel:DWORD src1_sel:WORD_0
	v_and_b32_e32 v3, s74, v3
	v_lshlrev_b32_e32 v3, 3, v3
	ds_read_b64 v[3:4], v3
	s_waitcnt lgkmcnt(0)
	v_lshlrev_b64 v[3:4], 1, v[3:4]
	v_add_co_u32_e64 v3, s[30:31], s58, v3
	v_addc_co_u32_e64 v4, s[30:31], v6, v4, s[30:31]
	v_add_co_u32_e64 v3, s[30:31], v3, v7
	v_addc_co_u32_e64 v4, s[30:31], 0, v4, s[30:31]
	global_store_short v[3:4], v5, off offset:1024
.LBB24_71:
	;; [unrolled: 23-line block ×6, first 2 shown]
	s_or_b64 exec, exec, s[42:43]
	v_or_b32_e32 v50, 0x700, v0
	v_cmp_gt_u32_e64 s[40:41], s70, v50
	s_and_saveexec_b64 s[44:45], s[40:41]
	s_cbranch_execz .LBB24_81
; %bb.80:
	v_lshlrev_b32_e32 v5, 1, v0
	ds_read_u16 v6, v5 offset:5632
	v_mov_b32_e32 v7, s59
	s_waitcnt lgkmcnt(0)
	v_lshrrev_b32_sdwa v3, s68, v6 dst_sel:DWORD dst_unused:UNUSED_PAD src0_sel:DWORD src1_sel:WORD_0
	v_and_b32_e32 v3, s74, v3
	v_lshlrev_b32_e32 v3, 3, v3
	ds_read_b64 v[3:4], v3
	s_waitcnt lgkmcnt(0)
	v_lshlrev_b64 v[3:4], 1, v[3:4]
	v_add_co_u32_e64 v3, s[42:43], s58, v3
	v_addc_co_u32_e64 v4, s[42:43], v7, v4, s[42:43]
	v_add_co_u32_e64 v3, s[42:43], v3, v5
	v_addc_co_u32_e64 v4, s[42:43], 0, v4, s[42:43]
	global_store_short v[3:4], v6, off offset:3584
.LBB24_81:
	s_or_b64 exec, exec, s[44:45]
	v_or_b32_e32 v51, 0x800, v0
	v_cmp_gt_u32_e64 s[42:43], s70, v51
	s_and_saveexec_b64 s[46:47], s[42:43]
	s_cbranch_execz .LBB24_83
; %bb.82:
	v_lshlrev_b32_e32 v3, 1, v0
	ds_read_u16 v5, v3 offset:6144
	v_mov_b32_e32 v6, s59
	v_lshlrev_b32_e32 v7, 1, v51
	s_waitcnt lgkmcnt(0)
	v_lshrrev_b32_sdwa v3, s68, v5 dst_sel:DWORD dst_unused:UNUSED_PAD src0_sel:DWORD src1_sel:WORD_0
	v_and_b32_e32 v3, s74, v3
	v_lshlrev_b32_e32 v3, 3, v3
	ds_read_b64 v[3:4], v3
	s_waitcnt lgkmcnt(0)
	v_lshlrev_b64 v[3:4], 1, v[3:4]
	v_add_co_u32_e64 v3, s[44:45], s58, v3
	v_addc_co_u32_e64 v4, s[44:45], v6, v4, s[44:45]
	v_add_co_u32_e64 v3, s[44:45], v3, v7
	v_addc_co_u32_e64 v4, s[44:45], 0, v4, s[44:45]
	global_store_short v[3:4], v5, off
.LBB24_83:
	s_or_b64 exec, exec, s[46:47]
	v_or_b32_e32 v52, 0x900, v0
	v_cmp_gt_u32_e64 s[44:45], s70, v52
	s_and_saveexec_b64 s[48:49], s[44:45]
	s_cbranch_execz .LBB24_85
; %bb.84:
	v_lshlrev_b32_e32 v3, 1, v0
	ds_read_u16 v5, v3 offset:6656
	v_mov_b32_e32 v6, s59
	v_lshlrev_b32_e32 v7, 1, v52
	s_waitcnt lgkmcnt(0)
	v_lshrrev_b32_sdwa v3, s68, v5 dst_sel:DWORD dst_unused:UNUSED_PAD src0_sel:DWORD src1_sel:WORD_0
	v_and_b32_e32 v3, s74, v3
	v_lshlrev_b32_e32 v3, 3, v3
	ds_read_b64 v[3:4], v3
	s_waitcnt lgkmcnt(0)
	v_lshlrev_b64 v[3:4], 1, v[3:4]
	v_add_co_u32_e64 v3, s[46:47], s58, v3
	v_addc_co_u32_e64 v4, s[46:47], v6, v4, s[46:47]
	v_add_co_u32_e64 v3, s[46:47], v3, v7
	v_addc_co_u32_e64 v4, s[46:47], 0, v4, s[46:47]
	global_store_short v[3:4], v5, off
.LBB24_85:
	;; [unrolled: 23-line block ×4, first 2 shown]
	s_or_b64 exec, exec, s[70:71]
	s_lshl_b64 s[52:53], s[54:55], 3
	s_add_u32 s52, s60, s52
	s_addc_u32 s53, s61, s53
	v_lshlrev_b32_e32 v3, 3, v9
	v_mov_b32_e32 v4, s53
	v_add_co_u32_e64 v3, s[52:53], s52, v3
	v_addc_co_u32_e64 v4, s[52:53], 0, v4, s[52:53]
	v_lshlrev_b32_e32 v5, 3, v10
	v_add_co_u32_e64 v27, s[52:53], v3, v5
	v_addc_co_u32_e64 v28, s[52:53], 0, v4, s[52:53]
                                        ; implicit-def: $vgpr3_vgpr4
	s_and_saveexec_b64 s[52:53], vcc
	s_xor_b64 s[52:53], exec, s[52:53]
	s_cbranch_execz .LBB24_101
; %bb.90:
	global_load_dwordx2 v[3:4], v[27:28], off
	s_or_b64 exec, exec, s[52:53]
                                        ; implicit-def: $vgpr5_vgpr6
	s_and_saveexec_b64 s[52:53], s[0:1]
	s_cbranch_execnz .LBB24_102
.LBB24_91:
	s_or_b64 exec, exec, s[52:53]
                                        ; implicit-def: $vgpr7_vgpr8
	s_and_saveexec_b64 s[0:1], s[2:3]
	s_cbranch_execz .LBB24_103
.LBB24_92:
	global_load_dwordx2 v[7:8], v[27:28], off offset:1024
	s_or_b64 exec, exec, s[0:1]
                                        ; implicit-def: $vgpr9_vgpr10
	s_and_saveexec_b64 s[0:1], s[50:51]
	s_cbranch_execnz .LBB24_104
.LBB24_93:
	s_or_b64 exec, exec, s[0:1]
                                        ; implicit-def: $vgpr11_vgpr12
	s_and_saveexec_b64 s[0:1], s[8:9]
	s_cbranch_execz .LBB24_105
.LBB24_94:
	global_load_dwordx2 v[11:12], v[27:28], off offset:2048
	s_or_b64 exec, exec, s[0:1]
                                        ; implicit-def: $vgpr13_vgpr14
	s_and_saveexec_b64 s[0:1], s[10:11]
	s_cbranch_execnz .LBB24_106
.LBB24_95:
	s_or_b64 exec, exec, s[0:1]
                                        ; implicit-def: $vgpr15_vgpr16
	s_and_saveexec_b64 s[0:1], s[12:13]
	s_cbranch_execz .LBB24_107
.LBB24_96:
	global_load_dwordx2 v[15:16], v[27:28], off offset:3072
	s_or_b64 exec, exec, s[0:1]
                                        ; implicit-def: $vgpr17_vgpr18
	s_and_saveexec_b64 s[0:1], s[14:15]
	s_cbranch_execnz .LBB24_108
.LBB24_97:
	s_or_b64 exec, exec, s[0:1]
                                        ; implicit-def: $vgpr19_vgpr20
	s_and_saveexec_b64 s[0:1], s[16:17]
	s_cbranch_execz .LBB24_109
.LBB24_98:
	v_add_co_u32_e32 v19, vcc, 0x1000, v27
	v_addc_co_u32_e32 v20, vcc, 0, v28, vcc
	global_load_dwordx2 v[19:20], v[19:20], off
	s_or_b64 exec, exec, s[0:1]
                                        ; implicit-def: $vgpr21_vgpr22
	s_and_saveexec_b64 s[0:1], s[18:19]
	s_cbranch_execnz .LBB24_110
.LBB24_99:
	s_or_b64 exec, exec, s[0:1]
                                        ; implicit-def: $vgpr23_vgpr24
	s_and_saveexec_b64 s[0:1], s[20:21]
	s_cbranch_execz .LBB24_111
.LBB24_100:
	v_add_co_u32_e32 v23, vcc, 0x1000, v27
	v_addc_co_u32_e32 v24, vcc, 0, v28, vcc
	global_load_dwordx2 v[23:24], v[23:24], off offset:1024
	s_or_b64 exec, exec, s[0:1]
                                        ; implicit-def: $vgpr25_vgpr26
	s_and_saveexec_b64 s[0:1], s[22:23]
	s_cbranch_execnz .LBB24_112
	s_branch .LBB24_113
.LBB24_101:
	s_or_b64 exec, exec, s[52:53]
                                        ; implicit-def: $vgpr5_vgpr6
	s_and_saveexec_b64 s[52:53], s[0:1]
	s_cbranch_execz .LBB24_91
.LBB24_102:
	global_load_dwordx2 v[5:6], v[27:28], off offset:512
	s_or_b64 exec, exec, s[52:53]
                                        ; implicit-def: $vgpr7_vgpr8
	s_and_saveexec_b64 s[0:1], s[2:3]
	s_cbranch_execnz .LBB24_92
.LBB24_103:
	s_or_b64 exec, exec, s[0:1]
                                        ; implicit-def: $vgpr9_vgpr10
	s_and_saveexec_b64 s[0:1], s[50:51]
	s_cbranch_execz .LBB24_93
.LBB24_104:
	global_load_dwordx2 v[9:10], v[27:28], off offset:1536
	s_or_b64 exec, exec, s[0:1]
                                        ; implicit-def: $vgpr11_vgpr12
	s_and_saveexec_b64 s[0:1], s[8:9]
	s_cbranch_execnz .LBB24_94
.LBB24_105:
	s_or_b64 exec, exec, s[0:1]
                                        ; implicit-def: $vgpr13_vgpr14
	s_and_saveexec_b64 s[0:1], s[10:11]
	s_cbranch_execz .LBB24_95
.LBB24_106:
	global_load_dwordx2 v[13:14], v[27:28], off offset:2560
	s_or_b64 exec, exec, s[0:1]
                                        ; implicit-def: $vgpr15_vgpr16
	s_and_saveexec_b64 s[0:1], s[12:13]
	s_cbranch_execnz .LBB24_96
.LBB24_107:
	s_or_b64 exec, exec, s[0:1]
                                        ; implicit-def: $vgpr17_vgpr18
	s_and_saveexec_b64 s[0:1], s[14:15]
	s_cbranch_execz .LBB24_97
.LBB24_108:
	global_load_dwordx2 v[17:18], v[27:28], off offset:3584
	s_or_b64 exec, exec, s[0:1]
                                        ; implicit-def: $vgpr19_vgpr20
	s_and_saveexec_b64 s[0:1], s[16:17]
	s_cbranch_execnz .LBB24_98
.LBB24_109:
	s_or_b64 exec, exec, s[0:1]
                                        ; implicit-def: $vgpr21_vgpr22
	s_and_saveexec_b64 s[0:1], s[18:19]
	s_cbranch_execz .LBB24_99
.LBB24_110:
	v_add_co_u32_e32 v21, vcc, 0x1000, v27
	v_addc_co_u32_e32 v22, vcc, 0, v28, vcc
	global_load_dwordx2 v[21:22], v[21:22], off offset:512
	s_or_b64 exec, exec, s[0:1]
                                        ; implicit-def: $vgpr23_vgpr24
	s_and_saveexec_b64 s[0:1], s[20:21]
	s_cbranch_execnz .LBB24_100
.LBB24_111:
	s_or_b64 exec, exec, s[0:1]
                                        ; implicit-def: $vgpr25_vgpr26
	s_and_saveexec_b64 s[0:1], s[22:23]
	s_cbranch_execz .LBB24_113
.LBB24_112:
	v_add_co_u32_e32 v25, vcc, 0x1000, v27
	v_addc_co_u32_e32 v26, vcc, 0, v28, vcc
	global_load_dwordx2 v[25:26], v[25:26], off offset:1536
.LBB24_113:
	s_or_b64 exec, exec, s[0:1]
	v_mov_b32_e32 v62, 0
	v_mov_b32_e32 v64, 0
	s_and_saveexec_b64 s[0:1], s[24:25]
	s_cbranch_execz .LBB24_115
; %bb.114:
	v_lshlrev_b32_e32 v27, 1, v0
	ds_read_u16 v27, v27 offset:2048
	s_waitcnt lgkmcnt(0)
	v_lshrrev_b32_e32 v27, s68, v27
	v_and_b32_e32 v64, s74, v27
.LBB24_115:
	s_or_b64 exec, exec, s[0:1]
	s_and_saveexec_b64 s[0:1], s[26:27]
	s_cbranch_execz .LBB24_117
; %bb.116:
	v_lshlrev_b32_e32 v27, 1, v0
	ds_read_u16 v27, v27 offset:2560
	s_waitcnt lgkmcnt(0)
	v_lshrrev_b32_e32 v27, s68, v27
	v_and_b32_e32 v62, s74, v27
.LBB24_117:
	s_or_b64 exec, exec, s[0:1]
	v_mov_b32_e32 v60, 0
	v_mov_b32_e32 v63, 0
	s_and_saveexec_b64 s[0:1], s[28:29]
	s_cbranch_execz .LBB24_119
; %bb.118:
	v_lshlrev_b32_e32 v27, 1, v0
	ds_read_u16 v27, v27 offset:3072
	s_waitcnt lgkmcnt(0)
	v_lshrrev_b32_e32 v27, s68, v27
	v_and_b32_e32 v63, s74, v27
.LBB24_119:
	s_or_b64 exec, exec, s[0:1]
	s_and_saveexec_b64 s[0:1], s[30:31]
	s_cbranch_execz .LBB24_121
; %bb.120:
	v_lshlrev_b32_e32 v27, 1, v0
	ds_read_u16 v27, v27 offset:3584
	s_waitcnt lgkmcnt(0)
	v_lshrrev_b32_e32 v27, s68, v27
	v_and_b32_e32 v60, s74, v27
.LBB24_121:
	;; [unrolled: 22-line block ×6, first 2 shown]
	s_or_b64 exec, exec, s[0:1]
	v_lshlrev_b32_e32 v46, 3, v46
	s_waitcnt vmcnt(0)
	s_barrier
	ds_write_b64 v46, v[3:4] offset:2048
	v_lshlrev_b32_e32 v3, 3, v45
	ds_write_b64 v3, v[5:6] offset:2048
	v_lshlrev_b32_e32 v3, 3, v44
	;; [unrolled: 2-line block ×11, first 2 shown]
	ds_write_b64 v3, v[25:26] offset:2048
	s_waitcnt lgkmcnt(0)
	s_barrier
	s_and_saveexec_b64 s[0:1], s[24:25]
	s_cbranch_execz .LBB24_196
; %bb.138:
	v_lshlrev_b32_e32 v3, 3, v64
	ds_read_b64 v[3:4], v3
	ds_read_b64 v[5:6], v32 offset:2048
	v_mov_b32_e32 v7, s63
	s_waitcnt lgkmcnt(1)
	v_lshlrev_b64 v[3:4], 3, v[3:4]
	v_add_co_u32_e32 v3, vcc, s62, v3
	v_addc_co_u32_e32 v4, vcc, v7, v4, vcc
	v_add_co_u32_e32 v3, vcc, v3, v32
	v_addc_co_u32_e32 v4, vcc, 0, v4, vcc
	s_waitcnt lgkmcnt(0)
	global_store_dwordx2 v[3:4], v[5:6], off
	s_or_b64 exec, exec, s[0:1]
	s_and_saveexec_b64 s[0:1], s[26:27]
	s_cbranch_execnz .LBB24_197
.LBB24_139:
	s_or_b64 exec, exec, s[0:1]
	s_and_saveexec_b64 s[0:1], s[28:29]
	s_cbranch_execz .LBB24_198
.LBB24_140:
	v_lshlrev_b32_e32 v3, 3, v63
	ds_read_b64 v[3:4], v3
	ds_read_b64 v[5:6], v32 offset:6144
	v_mov_b32_e32 v7, s63
	s_waitcnt lgkmcnt(1)
	v_lshlrev_b64 v[3:4], 3, v[3:4]
	v_add_co_u32_e32 v3, vcc, s62, v3
	v_addc_co_u32_e32 v4, vcc, v7, v4, vcc
	v_lshlrev_b32_e32 v7, 3, v41
	v_add_co_u32_e32 v3, vcc, v3, v7
	v_addc_co_u32_e32 v4, vcc, 0, v4, vcc
	s_waitcnt lgkmcnt(0)
	global_store_dwordx2 v[3:4], v[5:6], off
	s_or_b64 exec, exec, s[0:1]
	s_and_saveexec_b64 s[0:1], s[30:31]
	s_cbranch_execnz .LBB24_199
.LBB24_141:
	s_or_b64 exec, exec, s[0:1]
	s_and_saveexec_b64 s[0:1], s[34:35]
	s_cbranch_execz .LBB24_200
.LBB24_142:
	v_lshlrev_b32_e32 v3, 3, v61
	ds_read_b64 v[3:4], v3
	ds_read_b64 v[5:6], v32 offset:10240
	v_mov_b32_e32 v7, s63
	s_waitcnt lgkmcnt(1)
	v_lshlrev_b64 v[3:4], 3, v[3:4]
	v_add_co_u32_e32 v3, vcc, s62, v3
	v_addc_co_u32_e32 v4, vcc, v7, v4, vcc
	v_lshlrev_b32_e32 v7, 3, v47
	v_add_co_u32_e32 v3, vcc, v3, v7
	v_addc_co_u32_e32 v4, vcc, 0, v4, vcc
	s_waitcnt lgkmcnt(0)
	global_store_dwordx2 v[3:4], v[5:6], off
	s_or_b64 exec, exec, s[0:1]
	s_and_saveexec_b64 s[0:1], s[36:37]
	s_cbranch_execnz .LBB24_201
.LBB24_143:
	s_or_b64 exec, exec, s[0:1]
	s_and_saveexec_b64 s[0:1], s[38:39]
	s_cbranch_execz .LBB24_202
.LBB24_144:
	v_lshlrev_b32_e32 v3, 3, v59
	ds_read_b64 v[3:4], v3
	ds_read_b64 v[5:6], v32 offset:14336
	v_mov_b32_e32 v7, s63
	s_waitcnt lgkmcnt(1)
	v_lshlrev_b64 v[3:4], 3, v[3:4]
	v_add_co_u32_e32 v3, vcc, s62, v3
	v_addc_co_u32_e32 v4, vcc, v7, v4, vcc
	v_lshlrev_b32_e32 v7, 3, v49
	v_add_co_u32_e32 v3, vcc, v3, v7
	v_addc_co_u32_e32 v4, vcc, 0, v4, vcc
	s_waitcnt lgkmcnt(0)
	global_store_dwordx2 v[3:4], v[5:6], off
	s_or_b64 exec, exec, s[0:1]
	s_and_saveexec_b64 s[0:1], s[40:41]
	s_cbranch_execnz .LBB24_203
.LBB24_145:
	s_or_b64 exec, exec, s[0:1]
	s_and_saveexec_b64 s[0:1], s[42:43]
	s_cbranch_execz .LBB24_204
.LBB24_146:
	v_lshlrev_b32_e32 v3, 3, v57
	ds_read_b64 v[3:4], v3
	ds_read_b64 v[5:6], v32 offset:18432
	v_mov_b32_e32 v7, s63
	s_waitcnt lgkmcnt(1)
	v_lshlrev_b64 v[3:4], 3, v[3:4]
	v_add_co_u32_e32 v3, vcc, s62, v3
	v_addc_co_u32_e32 v4, vcc, v7, v4, vcc
	v_lshlrev_b32_e32 v7, 3, v51
	v_add_co_u32_e32 v3, vcc, v3, v7
	v_addc_co_u32_e32 v4, vcc, 0, v4, vcc
	s_waitcnt lgkmcnt(0)
	global_store_dwordx2 v[3:4], v[5:6], off
	s_or_b64 exec, exec, s[0:1]
	s_and_saveexec_b64 s[0:1], s[44:45]
	s_cbranch_execnz .LBB24_205
.LBB24_147:
	s_or_b64 exec, exec, s[0:1]
	s_and_saveexec_b64 s[0:1], s[46:47]
	s_cbranch_execz .LBB24_206
.LBB24_148:
	v_lshlrev_b32_e32 v3, 3, v55
	ds_read_b64 v[3:4], v3
	ds_read_b64 v[5:6], v32 offset:22528
	v_mov_b32_e32 v7, s63
	s_waitcnt lgkmcnt(1)
	v_lshlrev_b64 v[3:4], 3, v[3:4]
	v_add_co_u32_e32 v3, vcc, s62, v3
	v_addc_co_u32_e32 v4, vcc, v7, v4, vcc
	v_lshlrev_b32_e32 v7, 3, v53
	v_add_co_u32_e32 v3, vcc, v3, v7
	v_addc_co_u32_e32 v4, vcc, 0, v4, vcc
	s_waitcnt lgkmcnt(0)
	global_store_dwordx2 v[3:4], v[5:6], off
	s_or_b64 exec, exec, s[0:1]
	s_and_saveexec_b64 s[0:1], s[48:49]
	s_cbranch_execnz .LBB24_207
.LBB24_149:
	s_or_b64 exec, exec, s[0:1]
	s_add_i32 s33, s33, -1
	s_cmp_eq_u32 s6, s33
	s_cbranch_scc0 .LBB24_151
.LBB24_150:
	ds_read_b64 v[3:4], v32
	v_add_co_u32_e32 v5, vcc, v31, v30
	v_addc_co_u32_e64 v6, s[0:1], 0, 0, vcc
	s_waitcnt lgkmcnt(0)
	v_add_co_u32_e32 v3, vcc, v5, v3
	v_addc_co_u32_e32 v4, vcc, v6, v4, vcc
	global_store_dwordx2 v32, v[3:4], s[66:67]
.LBB24_151:
	s_mov_b64 s[0:1], 0
.LBB24_152:
	s_and_b64 vcc, exec, s[0:1]
	s_cbranch_vccz .LBB24_195
; %bb.153:
	s_mov_b32 s55, 0
	s_lshl_b64 s[0:1], s[54:55], 1
	v_mbcnt_hi_u32_b32 v8, -1, v29
	s_add_u32 s0, s56, s0
	v_lshlrev_b32_e32 v4, 1, v8
	v_add_co_u32_e32 v4, vcc, s0, v4
	s_load_dword s8, s[4:5], 0x50
	s_load_dword s0, s[4:5], 0x5c
	s_addc_u32 s1, s57, s1
	v_and_b32_e32 v20, 0xc0, v0
	v_mul_u32_u24_e32 v7, 12, v20
	v_mov_b32_e32 v5, s1
	s_add_u32 s1, s4, 0x50
	v_addc_co_u32_e32 v5, vcc, 0, v5, vcc
	v_lshlrev_b32_e32 v6, 1, v7
	s_addc_u32 s2, s5, 0
	s_waitcnt lgkmcnt(0)
	s_lshr_b32 s3, s0, 16
	v_add_co_u32_e32 v21, vcc, v4, v6
	s_cmp_lt_u32 s6, s8
	v_addc_co_u32_e32 v22, vcc, 0, v5, vcc
	s_cselect_b32 s0, 12, 18
	global_load_ushort v5, v[21:22], off
	s_add_u32 s0, s1, s0
	v_mov_b32_e32 v3, 0
	s_addc_u32 s1, s2, 0
	global_load_ushort v23, v3, s[0:1]
	v_mul_u32_u24_e32 v19, 20, v0
	ds_write2_b32 v19, v3, v3 offset0:4 offset1:5
	ds_write2_b32 v19, v3, v3 offset0:6 offset1:7
	ds_write_b32 v19, v3 offset:32
	global_load_ushort v18, v[21:22], off offset:128
	global_load_ushort v17, v[21:22], off offset:256
	global_load_ushort v16, v[21:22], off offset:384
	global_load_ushort v15, v[21:22], off offset:512
	global_load_ushort v14, v[21:22], off offset:640
	global_load_ushort v13, v[21:22], off offset:768
	global_load_ushort v12, v[21:22], off offset:896
	global_load_ushort v11, v[21:22], off offset:1024
	global_load_ushort v10, v[21:22], off offset:1152
	global_load_ushort v9, v[21:22], off offset:1280
	global_load_ushort v6, v[21:22], off offset:1408
	s_lshl_b32 s0, -1, s69
	v_mad_u32_u24 v1, v2, s3, v1
	s_not_b32 s9, s0
	s_waitcnt vmcnt(0) lgkmcnt(0)
	s_barrier
	; wave barrier
	v_lshrrev_b32_sdwa v2, s68, v5 dst_sel:DWORD dst_unused:UNUSED_PAD src0_sel:DWORD src1_sel:WORD_0
	v_and_b32_e32 v21, s9, v2
	v_and_b32_e32 v24, 1, v21
	v_lshlrev_b32_e32 v4, 30, v21
	v_mad_u64_u32 v[1:2], s[0:1], v1, v23, v[0:1]
	v_add_co_u32_e32 v2, vcc, -1, v24
	v_addc_co_u32_e64 v23, s[0:1], 0, -1, vcc
	v_cmp_ne_u32_e32 vcc, 0, v24
	v_cmp_gt_i64_e64 s[0:1], 0, v[3:4]
	v_not_b32_e32 v24, v4
	v_lshlrev_b32_e32 v4, 29, v21
	v_xor_b32_e32 v23, vcc_hi, v23
	v_xor_b32_e32 v2, vcc_lo, v2
	v_ashrrev_i32_e32 v24, 31, v24
	v_cmp_gt_i64_e32 vcc, 0, v[3:4]
	v_not_b32_e32 v25, v4
	v_lshlrev_b32_e32 v4, 28, v21
	v_and_b32_e32 v23, exec_hi, v23
	v_and_b32_e32 v2, exec_lo, v2
	v_xor_b32_e32 v26, s1, v24
	v_xor_b32_e32 v24, s0, v24
	v_ashrrev_i32_e32 v25, 31, v25
	v_cmp_gt_i64_e64 s[0:1], 0, v[3:4]
	v_not_b32_e32 v27, v4
	v_lshlrev_b32_e32 v4, 27, v21
	v_and_b32_e32 v23, v23, v26
	v_and_b32_e32 v2, v2, v24
	v_xor_b32_e32 v24, vcc_hi, v25
	v_xor_b32_e32 v25, vcc_lo, v25
	v_ashrrev_i32_e32 v26, 31, v27
	v_cmp_gt_i64_e32 vcc, 0, v[3:4]
	v_not_b32_e32 v4, v4
	v_lshrrev_b32_e32 v1, 4, v1
	v_and_b32_e32 v23, v23, v24
	v_and_b32_e32 v2, v2, v25
	v_xor_b32_e32 v24, s1, v26
	v_xor_b32_e32 v26, s0, v26
	v_ashrrev_i32_e32 v4, 31, v4
	v_and_b32_e32 v25, 0xffffffc, v1
	v_and_b32_e32 v1, v23, v24
	;; [unrolled: 1-line block ×3, first 2 shown]
	v_xor_b32_e32 v23, vcc_hi, v4
	v_xor_b32_e32 v4, vcc_lo, v4
	v_and_b32_e32 v2, v2, v4
	v_lshlrev_b32_e32 v4, 26, v21
	v_cmp_gt_i64_e32 vcc, 0, v[3:4]
	v_not_b32_e32 v4, v4
	v_ashrrev_i32_e32 v4, 31, v4
	v_and_b32_e32 v1, v1, v23
	v_xor_b32_e32 v23, vcc_hi, v4
	v_xor_b32_e32 v4, vcc_lo, v4
	v_and_b32_e32 v2, v2, v4
	v_lshlrev_b32_e32 v4, 25, v21
	v_cmp_gt_i64_e32 vcc, 0, v[3:4]
	v_not_b32_e32 v4, v4
	v_ashrrev_i32_e32 v4, 31, v4
	v_and_b32_e32 v1, v1, v23
	v_xor_b32_e32 v23, vcc_hi, v4
	v_xor_b32_e32 v4, vcc_lo, v4
	v_and_b32_e32 v1, v1, v23
	v_and_b32_e32 v23, v2, v4
	v_lshlrev_b32_e32 v4, 24, v21
	v_cmp_gt_i64_e32 vcc, 0, v[3:4]
	v_not_b32_e32 v2, v4
	v_ashrrev_i32_e32 v2, 31, v2
	v_mul_u32_u24_e32 v22, 20, v21
	v_xor_b32_e32 v4, vcc_hi, v2
	v_xor_b32_e32 v21, vcc_lo, v2
	v_and_b32_e32 v2, v1, v4
	v_and_b32_e32 v1, v23, v21
	v_mbcnt_lo_u32_b32 v4, v1, 0
	v_mbcnt_hi_u32_b32 v21, v2, v4
	v_cmp_ne_u64_e32 vcc, 0, v[1:2]
	v_cmp_eq_u32_e64 s[0:1], 0, v21
	s_and_b64 s[2:3], vcc, s[0:1]
	v_add_u32_e32 v23, v25, v22
	s_and_saveexec_b64 s[0:1], s[2:3]
; %bb.154:
	v_bcnt_u32_b32 v1, v1, 0
	v_bcnt_u32_b32 v1, v2, v1
	ds_write_b32 v23, v1 offset:16
; %bb.155:
	s_or_b64 exec, exec, s[0:1]
	v_lshrrev_b32_sdwa v1, s68, v18 dst_sel:DWORD dst_unused:UNUSED_PAD src0_sel:DWORD src1_sel:WORD_0
	v_and_b32_e32 v1, s9, v1
	v_mad_u32_u24 v2, v1, 20, v25
	; wave barrier
	ds_read_b32 v22, v2 offset:16
	v_and_b32_e32 v2, 1, v1
	v_add_co_u32_e32 v4, vcc, -1, v2
	v_addc_co_u32_e64 v24, s[0:1], 0, -1, vcc
	v_cmp_ne_u32_e32 vcc, 0, v2
	v_xor_b32_e32 v4, vcc_lo, v4
	v_xor_b32_e32 v2, vcc_hi, v24
	v_and_b32_e32 v24, exec_lo, v4
	v_lshlrev_b32_e32 v4, 30, v1
	v_cmp_gt_i64_e32 vcc, 0, v[3:4]
	v_not_b32_e32 v4, v4
	v_ashrrev_i32_e32 v4, 31, v4
	v_xor_b32_e32 v27, vcc_hi, v4
	v_xor_b32_e32 v4, vcc_lo, v4
	v_and_b32_e32 v24, v24, v4
	v_lshlrev_b32_e32 v4, 29, v1
	v_cmp_gt_i64_e32 vcc, 0, v[3:4]
	v_not_b32_e32 v4, v4
	v_and_b32_e32 v2, exec_hi, v2
	v_ashrrev_i32_e32 v4, 31, v4
	v_and_b32_e32 v2, v2, v27
	v_xor_b32_e32 v27, vcc_hi, v4
	v_xor_b32_e32 v4, vcc_lo, v4
	v_and_b32_e32 v24, v24, v4
	v_lshlrev_b32_e32 v4, 28, v1
	v_cmp_gt_i64_e32 vcc, 0, v[3:4]
	v_not_b32_e32 v4, v4
	v_ashrrev_i32_e32 v4, 31, v4
	v_and_b32_e32 v2, v2, v27
	v_xor_b32_e32 v27, vcc_hi, v4
	v_xor_b32_e32 v4, vcc_lo, v4
	v_and_b32_e32 v24, v24, v4
	v_lshlrev_b32_e32 v4, 27, v1
	v_cmp_gt_i64_e32 vcc, 0, v[3:4]
	v_not_b32_e32 v4, v4
	;; [unrolled: 8-line block ×4, first 2 shown]
	v_ashrrev_i32_e32 v4, 31, v4
	v_and_b32_e32 v2, v2, v27
	v_xor_b32_e32 v27, vcc_hi, v4
	v_xor_b32_e32 v4, vcc_lo, v4
	v_and_b32_e32 v24, v24, v4
	v_lshlrev_b32_e32 v4, 24, v1
	v_mul_u32_u24_e32 v26, 20, v1
	v_cmp_gt_i64_e32 vcc, 0, v[3:4]
	v_not_b32_e32 v1, v4
	v_ashrrev_i32_e32 v1, 31, v1
	v_xor_b32_e32 v3, vcc_hi, v1
	v_xor_b32_e32 v1, vcc_lo, v1
	v_and_b32_e32 v2, v2, v27
	v_and_b32_e32 v1, v24, v1
	;; [unrolled: 1-line block ×3, first 2 shown]
	v_mbcnt_lo_u32_b32 v3, v1, 0
	v_mbcnt_hi_u32_b32 v24, v2, v3
	v_cmp_ne_u64_e32 vcc, 0, v[1:2]
	v_cmp_eq_u32_e64 s[0:1], 0, v24
	s_and_b64 s[2:3], vcc, s[0:1]
	v_add_u32_e32 v27, v25, v26
	; wave barrier
	s_and_saveexec_b64 s[0:1], s[2:3]
	s_cbranch_execz .LBB24_157
; %bb.156:
	v_bcnt_u32_b32 v1, v1, 0
	v_bcnt_u32_b32 v1, v2, v1
	s_waitcnt lgkmcnt(0)
	v_add_u32_e32 v1, v22, v1
	ds_write_b32 v27, v1 offset:16
.LBB24_157:
	s_or_b64 exec, exec, s[0:1]
	v_lshrrev_b32_sdwa v1, s68, v17 dst_sel:DWORD dst_unused:UNUSED_PAD src0_sel:DWORD src1_sel:WORD_0
	v_and_b32_e32 v3, s9, v1
	v_and_b32_e32 v2, 1, v3
	v_add_co_u32_e32 v28, vcc, -1, v2
	v_addc_co_u32_e64 v29, s[0:1], 0, -1, vcc
	v_cmp_ne_u32_e32 vcc, 0, v2
	v_mad_u32_u24 v1, v3, 20, v25
	v_xor_b32_e32 v2, vcc_hi, v29
	; wave barrier
	ds_read_b32 v26, v1 offset:16
	v_mov_b32_e32 v1, 0
	v_and_b32_e32 v29, exec_hi, v2
	v_lshlrev_b32_e32 v2, 30, v3
	v_xor_b32_e32 v28, vcc_lo, v28
	v_cmp_gt_i64_e32 vcc, 0, v[1:2]
	v_not_b32_e32 v2, v2
	v_ashrrev_i32_e32 v2, 31, v2
	v_and_b32_e32 v28, exec_lo, v28
	v_xor_b32_e32 v30, vcc_hi, v2
	v_xor_b32_e32 v2, vcc_lo, v2
	v_and_b32_e32 v28, v28, v2
	v_lshlrev_b32_e32 v2, 29, v3
	v_cmp_gt_i64_e32 vcc, 0, v[1:2]
	v_not_b32_e32 v2, v2
	v_ashrrev_i32_e32 v2, 31, v2
	v_and_b32_e32 v29, v29, v30
	v_xor_b32_e32 v30, vcc_hi, v2
	v_xor_b32_e32 v2, vcc_lo, v2
	v_and_b32_e32 v28, v28, v2
	v_lshlrev_b32_e32 v2, 28, v3
	v_cmp_gt_i64_e32 vcc, 0, v[1:2]
	v_not_b32_e32 v2, v2
	v_ashrrev_i32_e32 v2, 31, v2
	v_and_b32_e32 v29, v29, v30
	;; [unrolled: 8-line block ×5, first 2 shown]
	v_xor_b32_e32 v30, vcc_hi, v2
	v_xor_b32_e32 v2, vcc_lo, v2
	v_and_b32_e32 v28, v28, v2
	v_lshlrev_b32_e32 v2, 24, v3
	v_cmp_gt_i64_e32 vcc, 0, v[1:2]
	v_not_b32_e32 v2, v2
	v_ashrrev_i32_e32 v2, 31, v2
	v_mul_u32_u24_e32 v4, 20, v3
	v_xor_b32_e32 v3, vcc_hi, v2
	v_xor_b32_e32 v2, vcc_lo, v2
	v_and_b32_e32 v29, v29, v30
	v_and_b32_e32 v2, v28, v2
	;; [unrolled: 1-line block ×3, first 2 shown]
	v_mbcnt_lo_u32_b32 v28, v2, 0
	v_mbcnt_hi_u32_b32 v28, v3, v28
	v_cmp_ne_u64_e32 vcc, 0, v[2:3]
	v_cmp_eq_u32_e64 s[0:1], 0, v28
	s_and_b64 s[2:3], vcc, s[0:1]
	v_add_u32_e32 v30, v25, v4
	; wave barrier
	s_and_saveexec_b64 s[0:1], s[2:3]
	s_cbranch_execz .LBB24_159
; %bb.158:
	v_bcnt_u32_b32 v2, v2, 0
	v_bcnt_u32_b32 v2, v3, v2
	s_waitcnt lgkmcnt(0)
	v_add_u32_e32 v2, v26, v2
	ds_write_b32 v30, v2 offset:16
.LBB24_159:
	s_or_b64 exec, exec, s[0:1]
	v_lshrrev_b32_sdwa v2, s68, v16 dst_sel:DWORD dst_unused:UNUSED_PAD src0_sel:DWORD src1_sel:WORD_0
	v_and_b32_e32 v3, s9, v2
	v_mad_u32_u24 v2, v3, 20, v25
	; wave barrier
	ds_read_b32 v29, v2 offset:16
	v_and_b32_e32 v2, 1, v3
	v_add_co_u32_e32 v31, vcc, -1, v2
	v_addc_co_u32_e64 v32, s[0:1], 0, -1, vcc
	v_cmp_ne_u32_e32 vcc, 0, v2
	v_xor_b32_e32 v2, vcc_hi, v32
	v_and_b32_e32 v32, exec_hi, v2
	v_lshlrev_b32_e32 v2, 30, v3
	v_xor_b32_e32 v31, vcc_lo, v31
	v_cmp_gt_i64_e32 vcc, 0, v[1:2]
	v_not_b32_e32 v2, v2
	v_ashrrev_i32_e32 v2, 31, v2
	v_and_b32_e32 v31, exec_lo, v31
	v_xor_b32_e32 v33, vcc_hi, v2
	v_xor_b32_e32 v2, vcc_lo, v2
	v_and_b32_e32 v31, v31, v2
	v_lshlrev_b32_e32 v2, 29, v3
	v_cmp_gt_i64_e32 vcc, 0, v[1:2]
	v_not_b32_e32 v2, v2
	v_ashrrev_i32_e32 v2, 31, v2
	v_and_b32_e32 v32, v32, v33
	v_xor_b32_e32 v33, vcc_hi, v2
	v_xor_b32_e32 v2, vcc_lo, v2
	v_and_b32_e32 v31, v31, v2
	v_lshlrev_b32_e32 v2, 28, v3
	v_cmp_gt_i64_e32 vcc, 0, v[1:2]
	v_not_b32_e32 v2, v2
	v_ashrrev_i32_e32 v2, 31, v2
	v_and_b32_e32 v32, v32, v33
	;; [unrolled: 8-line block ×5, first 2 shown]
	v_xor_b32_e32 v33, vcc_hi, v2
	v_xor_b32_e32 v2, vcc_lo, v2
	v_and_b32_e32 v31, v31, v2
	v_lshlrev_b32_e32 v2, 24, v3
	v_cmp_gt_i64_e32 vcc, 0, v[1:2]
	v_not_b32_e32 v1, v2
	v_ashrrev_i32_e32 v1, 31, v1
	v_xor_b32_e32 v2, vcc_hi, v1
	v_xor_b32_e32 v1, vcc_lo, v1
	v_and_b32_e32 v32, v32, v33
	v_and_b32_e32 v1, v31, v1
	v_mul_u32_u24_e32 v4, 20, v3
	v_and_b32_e32 v2, v32, v2
	v_mbcnt_lo_u32_b32 v3, v1, 0
	v_mbcnt_hi_u32_b32 v31, v2, v3
	v_cmp_ne_u64_e32 vcc, 0, v[1:2]
	v_cmp_eq_u32_e64 s[0:1], 0, v31
	s_and_b64 s[2:3], vcc, s[0:1]
	v_add_u32_e32 v33, v25, v4
	; wave barrier
	s_and_saveexec_b64 s[0:1], s[2:3]
	s_cbranch_execz .LBB24_161
; %bb.160:
	v_bcnt_u32_b32 v1, v1, 0
	v_bcnt_u32_b32 v1, v2, v1
	s_waitcnt lgkmcnt(0)
	v_add_u32_e32 v1, v29, v1
	ds_write_b32 v33, v1 offset:16
.LBB24_161:
	s_or_b64 exec, exec, s[0:1]
	v_lshrrev_b32_sdwa v1, s68, v15 dst_sel:DWORD dst_unused:UNUSED_PAD src0_sel:DWORD src1_sel:WORD_0
	v_and_b32_e32 v3, s9, v1
	v_and_b32_e32 v2, 1, v3
	v_add_co_u32_e32 v34, vcc, -1, v2
	v_addc_co_u32_e64 v35, s[0:1], 0, -1, vcc
	v_cmp_ne_u32_e32 vcc, 0, v2
	v_mad_u32_u24 v1, v3, 20, v25
	v_xor_b32_e32 v2, vcc_hi, v35
	; wave barrier
	ds_read_b32 v32, v1 offset:16
	v_mov_b32_e32 v1, 0
	v_and_b32_e32 v35, exec_hi, v2
	v_lshlrev_b32_e32 v2, 30, v3
	v_xor_b32_e32 v34, vcc_lo, v34
	v_cmp_gt_i64_e32 vcc, 0, v[1:2]
	v_not_b32_e32 v2, v2
	v_ashrrev_i32_e32 v2, 31, v2
	v_and_b32_e32 v34, exec_lo, v34
	v_xor_b32_e32 v36, vcc_hi, v2
	v_xor_b32_e32 v2, vcc_lo, v2
	v_and_b32_e32 v34, v34, v2
	v_lshlrev_b32_e32 v2, 29, v3
	v_cmp_gt_i64_e32 vcc, 0, v[1:2]
	v_not_b32_e32 v2, v2
	v_ashrrev_i32_e32 v2, 31, v2
	v_and_b32_e32 v35, v35, v36
	v_xor_b32_e32 v36, vcc_hi, v2
	v_xor_b32_e32 v2, vcc_lo, v2
	v_and_b32_e32 v34, v34, v2
	v_lshlrev_b32_e32 v2, 28, v3
	v_cmp_gt_i64_e32 vcc, 0, v[1:2]
	v_not_b32_e32 v2, v2
	v_ashrrev_i32_e32 v2, 31, v2
	v_and_b32_e32 v35, v35, v36
	;; [unrolled: 8-line block ×5, first 2 shown]
	v_xor_b32_e32 v36, vcc_hi, v2
	v_xor_b32_e32 v2, vcc_lo, v2
	v_and_b32_e32 v34, v34, v2
	v_lshlrev_b32_e32 v2, 24, v3
	v_cmp_gt_i64_e32 vcc, 0, v[1:2]
	v_not_b32_e32 v2, v2
	v_ashrrev_i32_e32 v2, 31, v2
	v_mul_u32_u24_e32 v4, 20, v3
	v_xor_b32_e32 v3, vcc_hi, v2
	v_xor_b32_e32 v2, vcc_lo, v2
	v_and_b32_e32 v35, v35, v36
	v_and_b32_e32 v2, v34, v2
	;; [unrolled: 1-line block ×3, first 2 shown]
	v_mbcnt_lo_u32_b32 v34, v2, 0
	v_mbcnt_hi_u32_b32 v34, v3, v34
	v_cmp_ne_u64_e32 vcc, 0, v[2:3]
	v_cmp_eq_u32_e64 s[0:1], 0, v34
	s_and_b64 s[2:3], vcc, s[0:1]
	v_add_u32_e32 v36, v25, v4
	; wave barrier
	s_and_saveexec_b64 s[0:1], s[2:3]
	s_cbranch_execz .LBB24_163
; %bb.162:
	v_bcnt_u32_b32 v2, v2, 0
	v_bcnt_u32_b32 v2, v3, v2
	s_waitcnt lgkmcnt(0)
	v_add_u32_e32 v2, v32, v2
	ds_write_b32 v36, v2 offset:16
.LBB24_163:
	s_or_b64 exec, exec, s[0:1]
	v_lshrrev_b32_sdwa v2, s68, v14 dst_sel:DWORD dst_unused:UNUSED_PAD src0_sel:DWORD src1_sel:WORD_0
	v_and_b32_e32 v3, s9, v2
	v_mad_u32_u24 v2, v3, 20, v25
	; wave barrier
	ds_read_b32 v35, v2 offset:16
	v_and_b32_e32 v2, 1, v3
	v_add_co_u32_e32 v37, vcc, -1, v2
	v_addc_co_u32_e64 v38, s[0:1], 0, -1, vcc
	v_cmp_ne_u32_e32 vcc, 0, v2
	v_xor_b32_e32 v2, vcc_hi, v38
	v_and_b32_e32 v38, exec_hi, v2
	v_lshlrev_b32_e32 v2, 30, v3
	v_xor_b32_e32 v37, vcc_lo, v37
	v_cmp_gt_i64_e32 vcc, 0, v[1:2]
	v_not_b32_e32 v2, v2
	v_ashrrev_i32_e32 v2, 31, v2
	v_and_b32_e32 v37, exec_lo, v37
	v_xor_b32_e32 v39, vcc_hi, v2
	v_xor_b32_e32 v2, vcc_lo, v2
	v_and_b32_e32 v37, v37, v2
	v_lshlrev_b32_e32 v2, 29, v3
	v_cmp_gt_i64_e32 vcc, 0, v[1:2]
	v_not_b32_e32 v2, v2
	v_ashrrev_i32_e32 v2, 31, v2
	v_and_b32_e32 v38, v38, v39
	v_xor_b32_e32 v39, vcc_hi, v2
	v_xor_b32_e32 v2, vcc_lo, v2
	v_and_b32_e32 v37, v37, v2
	v_lshlrev_b32_e32 v2, 28, v3
	v_cmp_gt_i64_e32 vcc, 0, v[1:2]
	v_not_b32_e32 v2, v2
	v_ashrrev_i32_e32 v2, 31, v2
	v_and_b32_e32 v38, v38, v39
	;; [unrolled: 8-line block ×5, first 2 shown]
	v_xor_b32_e32 v39, vcc_hi, v2
	v_xor_b32_e32 v2, vcc_lo, v2
	v_and_b32_e32 v37, v37, v2
	v_lshlrev_b32_e32 v2, 24, v3
	v_cmp_gt_i64_e32 vcc, 0, v[1:2]
	v_not_b32_e32 v1, v2
	v_ashrrev_i32_e32 v1, 31, v1
	v_xor_b32_e32 v2, vcc_hi, v1
	v_xor_b32_e32 v1, vcc_lo, v1
	v_and_b32_e32 v38, v38, v39
	v_and_b32_e32 v1, v37, v1
	v_mul_u32_u24_e32 v4, 20, v3
	v_and_b32_e32 v2, v38, v2
	v_mbcnt_lo_u32_b32 v3, v1, 0
	v_mbcnt_hi_u32_b32 v37, v2, v3
	v_cmp_ne_u64_e32 vcc, 0, v[1:2]
	v_cmp_eq_u32_e64 s[0:1], 0, v37
	s_and_b64 s[2:3], vcc, s[0:1]
	v_add_u32_e32 v39, v25, v4
	; wave barrier
	s_and_saveexec_b64 s[0:1], s[2:3]
	s_cbranch_execz .LBB24_165
; %bb.164:
	v_bcnt_u32_b32 v1, v1, 0
	v_bcnt_u32_b32 v1, v2, v1
	s_waitcnt lgkmcnt(0)
	v_add_u32_e32 v1, v35, v1
	ds_write_b32 v39, v1 offset:16
.LBB24_165:
	s_or_b64 exec, exec, s[0:1]
	v_lshrrev_b32_sdwa v1, s68, v13 dst_sel:DWORD dst_unused:UNUSED_PAD src0_sel:DWORD src1_sel:WORD_0
	v_and_b32_e32 v3, s9, v1
	v_and_b32_e32 v2, 1, v3
	v_add_co_u32_e32 v40, vcc, -1, v2
	v_addc_co_u32_e64 v41, s[0:1], 0, -1, vcc
	v_cmp_ne_u32_e32 vcc, 0, v2
	v_mad_u32_u24 v1, v3, 20, v25
	v_xor_b32_e32 v2, vcc_hi, v41
	; wave barrier
	ds_read_b32 v38, v1 offset:16
	v_mov_b32_e32 v1, 0
	v_and_b32_e32 v41, exec_hi, v2
	v_lshlrev_b32_e32 v2, 30, v3
	v_xor_b32_e32 v40, vcc_lo, v40
	v_cmp_gt_i64_e32 vcc, 0, v[1:2]
	v_not_b32_e32 v2, v2
	v_ashrrev_i32_e32 v2, 31, v2
	v_and_b32_e32 v40, exec_lo, v40
	v_xor_b32_e32 v42, vcc_hi, v2
	v_xor_b32_e32 v2, vcc_lo, v2
	v_and_b32_e32 v40, v40, v2
	v_lshlrev_b32_e32 v2, 29, v3
	v_cmp_gt_i64_e32 vcc, 0, v[1:2]
	v_not_b32_e32 v2, v2
	v_ashrrev_i32_e32 v2, 31, v2
	v_and_b32_e32 v41, v41, v42
	v_xor_b32_e32 v42, vcc_hi, v2
	v_xor_b32_e32 v2, vcc_lo, v2
	v_and_b32_e32 v40, v40, v2
	v_lshlrev_b32_e32 v2, 28, v3
	v_cmp_gt_i64_e32 vcc, 0, v[1:2]
	v_not_b32_e32 v2, v2
	v_ashrrev_i32_e32 v2, 31, v2
	v_and_b32_e32 v41, v41, v42
	;; [unrolled: 8-line block ×5, first 2 shown]
	v_xor_b32_e32 v42, vcc_hi, v2
	v_xor_b32_e32 v2, vcc_lo, v2
	v_and_b32_e32 v40, v40, v2
	v_lshlrev_b32_e32 v2, 24, v3
	v_cmp_gt_i64_e32 vcc, 0, v[1:2]
	v_not_b32_e32 v2, v2
	v_ashrrev_i32_e32 v2, 31, v2
	v_mul_u32_u24_e32 v4, 20, v3
	v_xor_b32_e32 v3, vcc_hi, v2
	v_xor_b32_e32 v2, vcc_lo, v2
	v_and_b32_e32 v41, v41, v42
	v_and_b32_e32 v2, v40, v2
	;; [unrolled: 1-line block ×3, first 2 shown]
	v_mbcnt_lo_u32_b32 v40, v2, 0
	v_mbcnt_hi_u32_b32 v40, v3, v40
	v_cmp_ne_u64_e32 vcc, 0, v[2:3]
	v_cmp_eq_u32_e64 s[0:1], 0, v40
	s_and_b64 s[2:3], vcc, s[0:1]
	v_add_u32_e32 v42, v25, v4
	; wave barrier
	s_and_saveexec_b64 s[0:1], s[2:3]
	s_cbranch_execz .LBB24_167
; %bb.166:
	v_bcnt_u32_b32 v2, v2, 0
	v_bcnt_u32_b32 v2, v3, v2
	s_waitcnt lgkmcnt(0)
	v_add_u32_e32 v2, v38, v2
	ds_write_b32 v42, v2 offset:16
.LBB24_167:
	s_or_b64 exec, exec, s[0:1]
	v_lshrrev_b32_sdwa v2, s68, v12 dst_sel:DWORD dst_unused:UNUSED_PAD src0_sel:DWORD src1_sel:WORD_0
	v_and_b32_e32 v3, s9, v2
	v_mad_u32_u24 v2, v3, 20, v25
	; wave barrier
	ds_read_b32 v41, v2 offset:16
	v_and_b32_e32 v2, 1, v3
	v_add_co_u32_e32 v43, vcc, -1, v2
	v_addc_co_u32_e64 v44, s[0:1], 0, -1, vcc
	v_cmp_ne_u32_e32 vcc, 0, v2
	v_xor_b32_e32 v2, vcc_hi, v44
	v_and_b32_e32 v44, exec_hi, v2
	v_lshlrev_b32_e32 v2, 30, v3
	v_xor_b32_e32 v43, vcc_lo, v43
	v_cmp_gt_i64_e32 vcc, 0, v[1:2]
	v_not_b32_e32 v2, v2
	v_ashrrev_i32_e32 v2, 31, v2
	v_and_b32_e32 v43, exec_lo, v43
	v_xor_b32_e32 v45, vcc_hi, v2
	v_xor_b32_e32 v2, vcc_lo, v2
	v_and_b32_e32 v43, v43, v2
	v_lshlrev_b32_e32 v2, 29, v3
	v_cmp_gt_i64_e32 vcc, 0, v[1:2]
	v_not_b32_e32 v2, v2
	v_ashrrev_i32_e32 v2, 31, v2
	v_and_b32_e32 v44, v44, v45
	v_xor_b32_e32 v45, vcc_hi, v2
	v_xor_b32_e32 v2, vcc_lo, v2
	v_and_b32_e32 v43, v43, v2
	v_lshlrev_b32_e32 v2, 28, v3
	v_cmp_gt_i64_e32 vcc, 0, v[1:2]
	v_not_b32_e32 v2, v2
	v_ashrrev_i32_e32 v2, 31, v2
	v_and_b32_e32 v44, v44, v45
	;; [unrolled: 8-line block ×5, first 2 shown]
	v_xor_b32_e32 v45, vcc_hi, v2
	v_xor_b32_e32 v2, vcc_lo, v2
	v_and_b32_e32 v43, v43, v2
	v_lshlrev_b32_e32 v2, 24, v3
	v_cmp_gt_i64_e32 vcc, 0, v[1:2]
	v_not_b32_e32 v1, v2
	v_ashrrev_i32_e32 v1, 31, v1
	v_xor_b32_e32 v2, vcc_hi, v1
	v_xor_b32_e32 v1, vcc_lo, v1
	v_and_b32_e32 v44, v44, v45
	v_and_b32_e32 v1, v43, v1
	v_mul_u32_u24_e32 v4, 20, v3
	v_and_b32_e32 v2, v44, v2
	v_mbcnt_lo_u32_b32 v3, v1, 0
	v_mbcnt_hi_u32_b32 v43, v2, v3
	v_cmp_ne_u64_e32 vcc, 0, v[1:2]
	v_cmp_eq_u32_e64 s[0:1], 0, v43
	s_and_b64 s[2:3], vcc, s[0:1]
	v_add_u32_e32 v45, v25, v4
	; wave barrier
	s_and_saveexec_b64 s[0:1], s[2:3]
	s_cbranch_execz .LBB24_169
; %bb.168:
	v_bcnt_u32_b32 v1, v1, 0
	v_bcnt_u32_b32 v1, v2, v1
	s_waitcnt lgkmcnt(0)
	v_add_u32_e32 v1, v41, v1
	ds_write_b32 v45, v1 offset:16
.LBB24_169:
	s_or_b64 exec, exec, s[0:1]
	v_lshrrev_b32_sdwa v1, s68, v11 dst_sel:DWORD dst_unused:UNUSED_PAD src0_sel:DWORD src1_sel:WORD_0
	v_and_b32_e32 v3, s9, v1
	v_and_b32_e32 v2, 1, v3
	v_add_co_u32_e32 v46, vcc, -1, v2
	v_addc_co_u32_e64 v47, s[0:1], 0, -1, vcc
	v_cmp_ne_u32_e32 vcc, 0, v2
	v_mad_u32_u24 v1, v3, 20, v25
	v_xor_b32_e32 v2, vcc_hi, v47
	; wave barrier
	ds_read_b32 v44, v1 offset:16
	v_mov_b32_e32 v1, 0
	v_and_b32_e32 v47, exec_hi, v2
	v_lshlrev_b32_e32 v2, 30, v3
	v_xor_b32_e32 v46, vcc_lo, v46
	v_cmp_gt_i64_e32 vcc, 0, v[1:2]
	v_not_b32_e32 v2, v2
	v_ashrrev_i32_e32 v2, 31, v2
	v_and_b32_e32 v46, exec_lo, v46
	v_xor_b32_e32 v48, vcc_hi, v2
	v_xor_b32_e32 v2, vcc_lo, v2
	v_and_b32_e32 v46, v46, v2
	v_lshlrev_b32_e32 v2, 29, v3
	v_cmp_gt_i64_e32 vcc, 0, v[1:2]
	v_not_b32_e32 v2, v2
	v_ashrrev_i32_e32 v2, 31, v2
	v_and_b32_e32 v47, v47, v48
	v_xor_b32_e32 v48, vcc_hi, v2
	v_xor_b32_e32 v2, vcc_lo, v2
	v_and_b32_e32 v46, v46, v2
	v_lshlrev_b32_e32 v2, 28, v3
	v_cmp_gt_i64_e32 vcc, 0, v[1:2]
	v_not_b32_e32 v2, v2
	v_ashrrev_i32_e32 v2, 31, v2
	v_and_b32_e32 v47, v47, v48
	;; [unrolled: 8-line block ×5, first 2 shown]
	v_xor_b32_e32 v48, vcc_hi, v2
	v_xor_b32_e32 v2, vcc_lo, v2
	v_and_b32_e32 v46, v46, v2
	v_lshlrev_b32_e32 v2, 24, v3
	v_cmp_gt_i64_e32 vcc, 0, v[1:2]
	v_not_b32_e32 v2, v2
	v_ashrrev_i32_e32 v2, 31, v2
	v_mul_u32_u24_e32 v4, 20, v3
	v_xor_b32_e32 v3, vcc_hi, v2
	v_xor_b32_e32 v2, vcc_lo, v2
	v_and_b32_e32 v47, v47, v48
	v_and_b32_e32 v2, v46, v2
	;; [unrolled: 1-line block ×3, first 2 shown]
	v_mbcnt_lo_u32_b32 v46, v2, 0
	v_mbcnt_hi_u32_b32 v46, v3, v46
	v_cmp_ne_u64_e32 vcc, 0, v[2:3]
	v_cmp_eq_u32_e64 s[0:1], 0, v46
	s_and_b64 s[2:3], vcc, s[0:1]
	v_add_u32_e32 v48, v25, v4
	; wave barrier
	s_and_saveexec_b64 s[0:1], s[2:3]
	s_cbranch_execz .LBB24_171
; %bb.170:
	v_bcnt_u32_b32 v2, v2, 0
	v_bcnt_u32_b32 v2, v3, v2
	s_waitcnt lgkmcnt(0)
	v_add_u32_e32 v2, v44, v2
	ds_write_b32 v48, v2 offset:16
.LBB24_171:
	s_or_b64 exec, exec, s[0:1]
	v_lshrrev_b32_sdwa v2, s68, v10 dst_sel:DWORD dst_unused:UNUSED_PAD src0_sel:DWORD src1_sel:WORD_0
	v_and_b32_e32 v3, s9, v2
	v_mad_u32_u24 v2, v3, 20, v25
	; wave barrier
	ds_read_b32 v47, v2 offset:16
	v_and_b32_e32 v2, 1, v3
	v_add_co_u32_e32 v49, vcc, -1, v2
	v_addc_co_u32_e64 v50, s[0:1], 0, -1, vcc
	v_cmp_ne_u32_e32 vcc, 0, v2
	v_xor_b32_e32 v2, vcc_hi, v50
	v_and_b32_e32 v50, exec_hi, v2
	v_lshlrev_b32_e32 v2, 30, v3
	v_xor_b32_e32 v49, vcc_lo, v49
	v_cmp_gt_i64_e32 vcc, 0, v[1:2]
	v_not_b32_e32 v2, v2
	v_ashrrev_i32_e32 v2, 31, v2
	v_and_b32_e32 v49, exec_lo, v49
	v_xor_b32_e32 v51, vcc_hi, v2
	v_xor_b32_e32 v2, vcc_lo, v2
	v_and_b32_e32 v49, v49, v2
	v_lshlrev_b32_e32 v2, 29, v3
	v_cmp_gt_i64_e32 vcc, 0, v[1:2]
	v_not_b32_e32 v2, v2
	v_ashrrev_i32_e32 v2, 31, v2
	v_and_b32_e32 v50, v50, v51
	v_xor_b32_e32 v51, vcc_hi, v2
	v_xor_b32_e32 v2, vcc_lo, v2
	v_and_b32_e32 v49, v49, v2
	v_lshlrev_b32_e32 v2, 28, v3
	v_cmp_gt_i64_e32 vcc, 0, v[1:2]
	v_not_b32_e32 v2, v2
	v_ashrrev_i32_e32 v2, 31, v2
	v_and_b32_e32 v50, v50, v51
	;; [unrolled: 8-line block ×5, first 2 shown]
	v_xor_b32_e32 v51, vcc_hi, v2
	v_xor_b32_e32 v2, vcc_lo, v2
	v_and_b32_e32 v49, v49, v2
	v_lshlrev_b32_e32 v2, 24, v3
	v_cmp_gt_i64_e32 vcc, 0, v[1:2]
	v_not_b32_e32 v1, v2
	v_ashrrev_i32_e32 v1, 31, v1
	v_xor_b32_e32 v2, vcc_hi, v1
	v_xor_b32_e32 v1, vcc_lo, v1
	v_and_b32_e32 v50, v50, v51
	v_and_b32_e32 v1, v49, v1
	v_mul_u32_u24_e32 v4, 20, v3
	v_and_b32_e32 v2, v50, v2
	v_mbcnt_lo_u32_b32 v3, v1, 0
	v_mbcnt_hi_u32_b32 v49, v2, v3
	v_cmp_ne_u64_e32 vcc, 0, v[1:2]
	v_cmp_eq_u32_e64 s[0:1], 0, v49
	s_and_b64 s[2:3], vcc, s[0:1]
	v_add_u32_e32 v51, v25, v4
	; wave barrier
	s_and_saveexec_b64 s[0:1], s[2:3]
	s_cbranch_execz .LBB24_173
; %bb.172:
	v_bcnt_u32_b32 v1, v1, 0
	v_bcnt_u32_b32 v1, v2, v1
	s_waitcnt lgkmcnt(0)
	v_add_u32_e32 v1, v47, v1
	ds_write_b32 v51, v1 offset:16
.LBB24_173:
	s_or_b64 exec, exec, s[0:1]
	v_lshrrev_b32_sdwa v1, s68, v9 dst_sel:DWORD dst_unused:UNUSED_PAD src0_sel:DWORD src1_sel:WORD_0
	v_and_b32_e32 v3, s9, v1
	v_and_b32_e32 v2, 1, v3
	v_add_co_u32_e32 v52, vcc, -1, v2
	v_addc_co_u32_e64 v53, s[0:1], 0, -1, vcc
	v_cmp_ne_u32_e32 vcc, 0, v2
	v_mad_u32_u24 v1, v3, 20, v25
	v_xor_b32_e32 v2, vcc_hi, v53
	; wave barrier
	ds_read_b32 v50, v1 offset:16
	v_mov_b32_e32 v1, 0
	v_and_b32_e32 v53, exec_hi, v2
	v_lshlrev_b32_e32 v2, 30, v3
	v_xor_b32_e32 v52, vcc_lo, v52
	v_cmp_gt_i64_e32 vcc, 0, v[1:2]
	v_not_b32_e32 v2, v2
	v_ashrrev_i32_e32 v2, 31, v2
	v_and_b32_e32 v52, exec_lo, v52
	v_xor_b32_e32 v54, vcc_hi, v2
	v_xor_b32_e32 v2, vcc_lo, v2
	v_and_b32_e32 v52, v52, v2
	v_lshlrev_b32_e32 v2, 29, v3
	v_cmp_gt_i64_e32 vcc, 0, v[1:2]
	v_not_b32_e32 v2, v2
	v_ashrrev_i32_e32 v2, 31, v2
	v_and_b32_e32 v53, v53, v54
	v_xor_b32_e32 v54, vcc_hi, v2
	v_xor_b32_e32 v2, vcc_lo, v2
	v_and_b32_e32 v52, v52, v2
	v_lshlrev_b32_e32 v2, 28, v3
	v_cmp_gt_i64_e32 vcc, 0, v[1:2]
	v_not_b32_e32 v2, v2
	v_ashrrev_i32_e32 v2, 31, v2
	v_and_b32_e32 v53, v53, v54
	;; [unrolled: 8-line block ×5, first 2 shown]
	v_xor_b32_e32 v54, vcc_hi, v2
	v_xor_b32_e32 v2, vcc_lo, v2
	v_and_b32_e32 v52, v52, v2
	v_lshlrev_b32_e32 v2, 24, v3
	v_cmp_gt_i64_e32 vcc, 0, v[1:2]
	v_not_b32_e32 v2, v2
	v_ashrrev_i32_e32 v2, 31, v2
	v_mul_u32_u24_e32 v4, 20, v3
	v_xor_b32_e32 v3, vcc_hi, v2
	v_xor_b32_e32 v2, vcc_lo, v2
	v_and_b32_e32 v53, v53, v54
	v_and_b32_e32 v2, v52, v2
	;; [unrolled: 1-line block ×3, first 2 shown]
	v_mbcnt_lo_u32_b32 v52, v2, 0
	v_mbcnt_hi_u32_b32 v52, v3, v52
	v_cmp_ne_u64_e32 vcc, 0, v[2:3]
	v_cmp_eq_u32_e64 s[0:1], 0, v52
	s_and_b64 s[2:3], vcc, s[0:1]
	v_add_u32_e32 v54, v25, v4
	; wave barrier
	s_and_saveexec_b64 s[0:1], s[2:3]
	s_cbranch_execz .LBB24_175
; %bb.174:
	v_bcnt_u32_b32 v2, v2, 0
	v_bcnt_u32_b32 v2, v3, v2
	s_waitcnt lgkmcnt(0)
	v_add_u32_e32 v2, v50, v2
	ds_write_b32 v54, v2 offset:16
.LBB24_175:
	s_or_b64 exec, exec, s[0:1]
	v_lshrrev_b32_sdwa v2, s68, v6 dst_sel:DWORD dst_unused:UNUSED_PAD src0_sel:DWORD src1_sel:WORD_0
	v_and_b32_e32 v3, s9, v2
	v_mad_u32_u24 v2, v3, 20, v25
	; wave barrier
	ds_read_b32 v53, v2 offset:16
	v_and_b32_e32 v2, 1, v3
	v_add_co_u32_e32 v55, vcc, -1, v2
	v_addc_co_u32_e64 v56, s[0:1], 0, -1, vcc
	v_cmp_ne_u32_e32 vcc, 0, v2
	v_xor_b32_e32 v2, vcc_hi, v56
	v_and_b32_e32 v56, exec_hi, v2
	v_lshlrev_b32_e32 v2, 30, v3
	v_xor_b32_e32 v55, vcc_lo, v55
	v_cmp_gt_i64_e32 vcc, 0, v[1:2]
	v_not_b32_e32 v2, v2
	v_ashrrev_i32_e32 v2, 31, v2
	v_and_b32_e32 v55, exec_lo, v55
	v_xor_b32_e32 v57, vcc_hi, v2
	v_xor_b32_e32 v2, vcc_lo, v2
	v_and_b32_e32 v55, v55, v2
	v_lshlrev_b32_e32 v2, 29, v3
	v_cmp_gt_i64_e32 vcc, 0, v[1:2]
	v_not_b32_e32 v2, v2
	v_ashrrev_i32_e32 v2, 31, v2
	v_and_b32_e32 v56, v56, v57
	v_xor_b32_e32 v57, vcc_hi, v2
	v_xor_b32_e32 v2, vcc_lo, v2
	v_and_b32_e32 v55, v55, v2
	v_lshlrev_b32_e32 v2, 28, v3
	v_cmp_gt_i64_e32 vcc, 0, v[1:2]
	v_not_b32_e32 v2, v2
	v_ashrrev_i32_e32 v2, 31, v2
	v_and_b32_e32 v56, v56, v57
	v_xor_b32_e32 v57, vcc_hi, v2
	v_xor_b32_e32 v2, vcc_lo, v2
	v_and_b32_e32 v55, v55, v2
	v_lshlrev_b32_e32 v2, 27, v3
	v_cmp_gt_i64_e32 vcc, 0, v[1:2]
	v_not_b32_e32 v2, v2
	v_ashrrev_i32_e32 v2, 31, v2
	v_and_b32_e32 v56, v56, v57
	v_xor_b32_e32 v57, vcc_hi, v2
	v_xor_b32_e32 v2, vcc_lo, v2
	v_and_b32_e32 v55, v55, v2
	v_lshlrev_b32_e32 v2, 26, v3
	v_cmp_gt_i64_e32 vcc, 0, v[1:2]
	v_not_b32_e32 v2, v2
	v_ashrrev_i32_e32 v2, 31, v2
	v_and_b32_e32 v56, v56, v57
	v_xor_b32_e32 v57, vcc_hi, v2
	v_xor_b32_e32 v2, vcc_lo, v2
	v_and_b32_e32 v55, v55, v2
	v_lshlrev_b32_e32 v2, 25, v3
	v_cmp_gt_i64_e32 vcc, 0, v[1:2]
	v_not_b32_e32 v2, v2
	v_ashrrev_i32_e32 v2, 31, v2
	v_and_b32_e32 v56, v56, v57
	v_xor_b32_e32 v57, vcc_hi, v2
	v_xor_b32_e32 v2, vcc_lo, v2
	v_and_b32_e32 v55, v55, v2
	v_lshlrev_b32_e32 v2, 24, v3
	v_cmp_gt_i64_e32 vcc, 0, v[1:2]
	v_not_b32_e32 v1, v2
	v_ashrrev_i32_e32 v1, 31, v1
	v_xor_b32_e32 v2, vcc_hi, v1
	v_xor_b32_e32 v1, vcc_lo, v1
	v_and_b32_e32 v56, v56, v57
	v_and_b32_e32 v1, v55, v1
	v_mul_u32_u24_e32 v4, 20, v3
	v_and_b32_e32 v2, v56, v2
	v_mbcnt_lo_u32_b32 v3, v1, 0
	v_mbcnt_hi_u32_b32 v55, v2, v3
	v_cmp_ne_u64_e32 vcc, 0, v[1:2]
	v_cmp_eq_u32_e64 s[0:1], 0, v55
	s_and_b64 s[2:3], vcc, s[0:1]
	v_add_u32_e32 v25, v25, v4
	; wave barrier
	s_and_saveexec_b64 s[0:1], s[2:3]
	s_cbranch_execz .LBB24_177
; %bb.176:
	v_bcnt_u32_b32 v1, v1, 0
	v_bcnt_u32_b32 v1, v2, v1
	s_waitcnt lgkmcnt(0)
	v_add_u32_e32 v1, v53, v1
	ds_write_b32 v25, v1 offset:16
.LBB24_177:
	s_or_b64 exec, exec, s[0:1]
	; wave barrier
	s_waitcnt lgkmcnt(0)
	s_barrier
	ds_read2_b32 v[3:4], v19 offset0:4 offset1:5
	ds_read2_b32 v[1:2], v19 offset0:6 offset1:7
	ds_read_b32 v56, v19 offset:32
	v_min_u32_e32 v20, 0xc0, v20
	v_or_b32_e32 v20, 63, v20
	s_waitcnt lgkmcnt(1)
	v_add3_u32 v57, v4, v3, v1
	s_waitcnt lgkmcnt(0)
	v_add3_u32 v56, v57, v2, v56
	v_and_b32_e32 v57, 15, v8
	v_cmp_ne_u32_e32 vcc, 0, v57
	v_mov_b32_dpp v58, v56 row_shr:1 row_mask:0xf bank_mask:0xf
	v_cndmask_b32_e32 v58, 0, v58, vcc
	v_add_u32_e32 v56, v58, v56
	v_cmp_lt_u32_e32 vcc, 1, v57
	s_nop 0
	v_mov_b32_dpp v58, v56 row_shr:2 row_mask:0xf bank_mask:0xf
	v_cndmask_b32_e32 v58, 0, v58, vcc
	v_add_u32_e32 v56, v56, v58
	v_cmp_lt_u32_e32 vcc, 3, v57
	s_nop 0
	;; [unrolled: 5-line block ×3, first 2 shown]
	v_mov_b32_dpp v58, v56 row_shr:8 row_mask:0xf bank_mask:0xf
	v_cndmask_b32_e32 v57, 0, v58, vcc
	v_add_u32_e32 v56, v56, v57
	v_bfe_i32 v58, v8, 4, 1
	v_cmp_lt_u32_e32 vcc, 31, v8
	v_mov_b32_dpp v57, v56 row_bcast:15 row_mask:0xf bank_mask:0xf
	v_and_b32_e32 v57, v58, v57
	v_add_u32_e32 v56, v56, v57
	s_nop 1
	v_mov_b32_dpp v57, v56 row_bcast:31 row_mask:0xf bank_mask:0xf
	v_cndmask_b32_e32 v57, 0, v57, vcc
	v_add_u32_e32 v56, v56, v57
	v_lshrrev_b32_e32 v57, 6, v0
	v_cmp_eq_u32_e32 vcc, v0, v20
	s_and_saveexec_b64 s[0:1], vcc
; %bb.178:
	v_lshlrev_b32_e32 v20, 2, v57
	ds_write_b32 v20, v56
; %bb.179:
	s_or_b64 exec, exec, s[0:1]
	v_cmp_gt_u32_e32 vcc, 4, v0
	s_waitcnt lgkmcnt(0)
	s_barrier
	s_and_saveexec_b64 s[0:1], vcc
	s_cbranch_execz .LBB24_181
; %bb.180:
	v_lshlrev_b32_e32 v20, 2, v0
	ds_read_b32 v58, v20
	v_and_b32_e32 v59, 3, v8
	v_cmp_ne_u32_e32 vcc, 0, v59
	s_waitcnt lgkmcnt(0)
	v_mov_b32_dpp v60, v58 row_shr:1 row_mask:0xf bank_mask:0xf
	v_cndmask_b32_e32 v60, 0, v60, vcc
	v_add_u32_e32 v58, v60, v58
	v_cmp_lt_u32_e32 vcc, 1, v59
	s_nop 0
	v_mov_b32_dpp v60, v58 row_shr:2 row_mask:0xf bank_mask:0xf
	v_cndmask_b32_e32 v59, 0, v60, vcc
	v_add_u32_e32 v58, v58, v59
	ds_write_b32 v20, v58
.LBB24_181:
	s_or_b64 exec, exec, s[0:1]
	v_cmp_lt_u32_e32 vcc, 63, v0
	v_mov_b32_e32 v20, 0
	s_waitcnt lgkmcnt(0)
	s_barrier
	s_and_saveexec_b64 s[0:1], vcc
; %bb.182:
	v_lshl_add_u32 v20, v57, 2, -4
	ds_read_b32 v20, v20
; %bb.183:
	s_or_b64 exec, exec, s[0:1]
	v_add_u32_e32 v57, -1, v8
	v_and_b32_e32 v58, 64, v8
	v_cmp_lt_i32_e32 vcc, v57, v58
	v_cndmask_b32_e32 v57, v57, v8, vcc
	s_waitcnt lgkmcnt(0)
	v_add_u32_e32 v56, v20, v56
	v_lshlrev_b32_e32 v57, 2, v57
	ds_bpermute_b32 v56, v57, v56
	v_cmp_eq_u32_e32 vcc, 0, v8
	s_movk_i32 s0, 0x100
	s_waitcnt lgkmcnt(0)
	v_cndmask_b32_e32 v20, v56, v20, vcc
	v_cmp_ne_u32_e32 vcc, 0, v0
	v_cndmask_b32_e32 v20, 0, v20, vcc
	v_add_u32_e32 v3, v20, v3
	v_add_u32_e32 v4, v3, v4
	;; [unrolled: 1-line block ×4, first 2 shown]
	ds_write2_b32 v19, v20, v3 offset0:4 offset1:5
	ds_write2_b32 v19, v4, v1 offset0:6 offset1:7
	ds_write_b32 v19, v2 offset:32
	s_waitcnt lgkmcnt(0)
	s_barrier
	ds_read_b32 v2, v23 offset:16
	ds_read_b32 v3, v27 offset:16
	ds_read_b32 v4, v30 offset:16
	ds_read_b32 v20, v33 offset:16
	ds_read_b32 v23, v36 offset:16
	ds_read_b32 v39, v39 offset:16
	ds_read_b32 v42, v42 offset:16
	ds_read_b32 v45, v45 offset:16
	ds_read_b32 v48, v48 offset:16
	ds_read_b32 v51, v51 offset:16
	ds_read_b32 v54, v54 offset:16
	ds_read_b32 v56, v25 offset:16
	ds_read_b32 v19, v19 offset:16
	v_add_u32_e32 v25, 1, v0
	v_cmp_ne_u32_e32 vcc, s0, v25
	v_mov_b32_e32 v1, 0xc00
	s_and_saveexec_b64 s[0:1], vcc
; %bb.184:
	v_mul_u32_u24_e32 v1, 20, v25
	ds_read_b32 v1, v1 offset:16
; %bb.185:
	s_or_b64 exec, exec, s[0:1]
	s_waitcnt lgkmcnt(12)
	v_add_u32_e32 v36, v2, v21
	s_waitcnt lgkmcnt(11)
	v_add3_u32 v33, v24, v22, v3
	v_lshlrev_b32_e32 v2, 1, v36
	s_waitcnt lgkmcnt(10)
	v_add3_u32 v30, v28, v26, v4
	s_waitcnt lgkmcnt(0)
	s_barrier
	ds_write_b16 v2, v5 offset:2048
	v_lshlrev_b32_e32 v2, 1, v33
	v_add3_u32 v28, v31, v29, v20
	ds_write_b16 v2, v18 offset:2048
	v_lshlrev_b32_e32 v2, 1, v30
	v_add3_u32 v27, v34, v32, v23
	;; [unrolled: 3-line block ×9, first 2 shown]
	ds_write_b16 v2, v10 offset:2048
	v_lshlrev_b32_e32 v2, 1, v21
	ds_write_b16 v2, v9 offset:2048
	v_lshlrev_b32_e32 v2, 1, v20
	ds_write_b16 v2, v6 offset:2048
	v_sub_u32_e32 v9, v1, v19
	v_lshl_or_b32 v1, s6, 8, v0
	v_mov_b32_e32 v2, 0
	v_lshlrev_b64 v[3:4], 2, v[1:2]
	v_mov_b32_e32 v10, s73
	v_add_co_u32_e32 v3, vcc, s72, v3
	v_addc_co_u32_e32 v4, vcc, v10, v4, vcc
	v_or_b32_e32 v1, 2.0, v9
	s_mov_b64 s[0:1], 0
	s_brev_b32 s10, -4
	v_mov_b32_e32 v11, 0
	s_waitcnt lgkmcnt(0)
	s_barrier
	global_store_dword v[3:4], v1, off
                                        ; implicit-def: $sgpr2_sgpr3
	s_branch .LBB24_188
.LBB24_186:                             ;   in Loop: Header=BB24_188 Depth=1
	s_or_b64 exec, exec, s[4:5]
.LBB24_187:                             ;   in Loop: Header=BB24_188 Depth=1
	s_or_b64 exec, exec, s[2:3]
	v_and_b32_e32 v5, 0x3fffffff, v1
	v_add_u32_e32 v11, v5, v11
	v_cmp_gt_i32_e64 s[2:3], -2.0, v1
	s_and_b64 s[4:5], exec, s[2:3]
	s_or_b64 s[0:1], s[4:5], s[0:1]
	s_andn2_b64 exec, exec, s[0:1]
	s_cbranch_execz .LBB24_193
.LBB24_188:                             ; =>This Loop Header: Depth=1
                                        ;     Child Loop BB24_191 Depth 2
	s_or_b64 s[2:3], s[2:3], exec
	s_cmp_eq_u32 s7, 0
	s_cbranch_scc1 .LBB24_192
; %bb.189:                              ;   in Loop: Header=BB24_188 Depth=1
	s_add_i32 s7, s7, -1
	v_lshl_or_b32 v1, s7, 8, v0
	v_lshlrev_b64 v[5:6], 2, v[1:2]
	v_add_co_u32_e32 v5, vcc, s72, v5
	v_addc_co_u32_e32 v6, vcc, v10, v6, vcc
	global_load_dword v1, v[5:6], off glc
	s_waitcnt vmcnt(0)
	v_cmp_gt_u32_e32 vcc, 2.0, v1
	s_and_saveexec_b64 s[2:3], vcc
	s_cbranch_execz .LBB24_187
; %bb.190:                              ;   in Loop: Header=BB24_188 Depth=1
	s_mov_b64 s[4:5], 0
.LBB24_191:                             ;   Parent Loop BB24_188 Depth=1
                                        ; =>  This Inner Loop Header: Depth=2
	global_load_dword v1, v[5:6], off glc
	s_waitcnt vmcnt(0)
	v_cmp_lt_u32_e32 vcc, s10, v1
	s_or_b64 s[4:5], vcc, s[4:5]
	s_andn2_b64 exec, exec, s[4:5]
	s_cbranch_execnz .LBB24_191
	s_branch .LBB24_186
.LBB24_192:                             ;   in Loop: Header=BB24_188 Depth=1
                                        ; implicit-def: $sgpr7
	s_and_b64 s[4:5], exec, s[2:3]
	s_or_b64 s[0:1], s[4:5], s[0:1]
	s_andn2_b64 exec, exec, s[0:1]
	s_cbranch_execnz .LBB24_188
.LBB24_193:
	s_or_b64 exec, exec, s[0:1]
	v_add_u32_e32 v2, v11, v9
	v_or_b32_e32 v2, 0x80000000, v2
	v_lshlrev_b32_e32 v1, 3, v0
	global_store_dword v[3:4], v2, off
	global_load_dwordx2 v[2:3], v1, s[64:65]
	v_sub_co_u32_e32 v4, vcc, v11, v19
	v_subb_co_u32_e64 v5, s[0:1], 0, 0, vcc
	v_mad_i32_i24 v49, v0, -6, v1
	v_mov_b32_e32 v6, s59
	v_mov_b32_e32 v17, s59
	;; [unrolled: 1-line block ×5, first 2 shown]
	v_lshlrev_b32_e32 v16, 1, v0
	s_lshl_b64 s[0:1], s[54:55], 3
	s_add_u32 s0, s60, s0
	s_addc_u32 s1, s61, s1
	v_or_b32_e32 v60, 0x800, v0
	v_lshlrev_b32_e32 v47, 1, v60
	v_mov_b32_e32 v64, s59
	s_add_i32 s8, s8, -1
	s_cmp_lg_u32 s6, s8
	s_waitcnt vmcnt(0)
	v_add_co_u32_e32 v2, vcc, v4, v2
	v_addc_co_u32_e32 v3, vcc, v5, v3, vcc
	ds_write_b64 v1, v[2:3]
	s_waitcnt lgkmcnt(0)
	s_barrier
	ds_read_u16 v32, v49 offset:2048
	ds_read_u16 v34, v49 offset:2560
	;; [unrolled: 1-line block ×8, first 2 shown]
	s_waitcnt lgkmcnt(6)
	v_lshrrev_b32_sdwa v3, s68, v34 dst_sel:DWORD dst_unused:UNUSED_PAD src0_sel:DWORD src1_sel:WORD_0
	v_lshrrev_b32_sdwa v2, s68, v32 dst_sel:DWORD dst_unused:UNUSED_PAD src0_sel:DWORD src1_sel:WORD_0
	s_waitcnt lgkmcnt(5)
	v_lshrrev_b32_sdwa v4, s68, v35 dst_sel:DWORD dst_unused:UNUSED_PAD src0_sel:DWORD src1_sel:WORD_0
	s_waitcnt lgkmcnt(4)
	;; [unrolled: 2-line block ×3, first 2 shown]
	v_lshrrev_b32_sdwa v10, s68, v38 dst_sel:DWORD dst_unused:UNUSED_PAD src0_sel:DWORD src1_sel:WORD_0
	v_and_b32_e32 v3, s9, v3
	v_and_b32_e32 v2, s9, v2
	;; [unrolled: 1-line block ×5, first 2 shown]
	v_lshlrev_b32_e32 v51, 3, v3
	v_lshlrev_b32_e32 v50, 3, v2
	;; [unrolled: 1-line block ×5, first 2 shown]
	ds_read_b64 v[2:3], v51
	ds_read_b64 v[4:5], v52
	;; [unrolled: 1-line block ×5, first 2 shown]
	ds_read_u16 v45, v49 offset:6144
	ds_read_u16 v55, v49 offset:6656
	;; [unrolled: 1-line block ×4, first 2 shown]
	s_waitcnt lgkmcnt(4)
	v_lshlrev_b64 v[14:15], 1, v[14:15]
	v_lshlrev_b64 v[2:3], 1, v[2:3]
	v_add_co_u32_e32 v14, vcc, s58, v14
	v_addc_co_u32_e32 v6, vcc, v6, v15, vcc
	v_lshlrev_b64 v[4:5], 1, v[4:5]
	v_add_co_u32_e32 v15, vcc, s58, v2
	v_addc_co_u32_e32 v17, vcc, v17, v3, vcc
	;; [unrolled: 3-line block ×4, first 2 shown]
	v_add_co_u32_e32 v44, vcc, s58, v12
	v_addc_co_u32_e32 v31, vcc, v31, v13, vcc
	v_add_co_u32_e32 v2, vcc, v14, v16
	v_addc_co_u32_e32 v3, vcc, 0, v6, vcc
	;; [unrolled: 2-line block ×5, first 2 shown]
	global_store_short v[2:3], v32, off
	global_store_short v[4:5], v34, off offset:512
	global_store_short v[10:11], v35, off offset:1024
	;; [unrolled: 1-line block ×3, first 2 shown]
	v_add_co_u32_e32 v2, vcc, v44, v16
	v_addc_co_u32_e32 v3, vcc, 0, v31, vcc
	global_store_short v[2:3], v38, off offset:2048
	v_lshrrev_b32_sdwa v2, s68, v39 dst_sel:DWORD dst_unused:UNUSED_PAD src0_sel:DWORD src1_sel:WORD_0
	v_and_b32_e32 v2, s9, v2
	v_lshlrev_b32_e32 v18, 3, v2
	ds_read_b64 v[2:3], v18
	v_lshrrev_b32_sdwa v4, s68, v40 dst_sel:DWORD dst_unused:UNUSED_PAD src0_sel:DWORD src1_sel:WORD_0
	v_and_b32_e32 v4, s9, v4
	v_lshlrev_b32_e32 v29, 3, v4
	v_lshrrev_b32_sdwa v4, s68, v41 dst_sel:DWORD dst_unused:UNUSED_PAD src0_sel:DWORD src1_sel:WORD_0
	v_and_b32_e32 v4, s9, v4
	s_waitcnt lgkmcnt(0)
	v_lshlrev_b64 v[2:3], 1, v[2:3]
	v_lshlrev_b32_e32 v58, 3, v4
	v_lshrrev_b32_sdwa v4, s68, v45 dst_sel:DWORD dst_unused:UNUSED_PAD src0_sel:DWORD src1_sel:WORD_0
	v_and_b32_e32 v4, s9, v4
	v_mov_b32_e32 v6, s59
	v_add_co_u32_e32 v2, vcc, s58, v2
	v_lshlrev_b32_e32 v59, 3, v4
	ds_read_b64 v[4:5], v29
	ds_read_b64 v[10:11], v58
	;; [unrolled: 1-line block ×3, first 2 shown]
	v_addc_co_u32_e32 v3, vcc, v6, v3, vcc
	v_add_co_u32_e32 v2, vcc, v2, v16
	v_addc_co_u32_e32 v3, vcc, 0, v3, vcc
	global_store_short v[2:3], v39, off offset:2560
	s_waitcnt lgkmcnt(2)
	v_lshlrev_b64 v[2:3], 1, v[4:5]
	v_mov_b32_e32 v4, s59
	v_add_co_u32_e32 v2, vcc, s58, v2
	v_addc_co_u32_e32 v3, vcc, v4, v3, vcc
	v_add_co_u32_e32 v2, vcc, v2, v16
	v_addc_co_u32_e32 v3, vcc, 0, v3, vcc
	global_store_short v[2:3], v40, off offset:3072
	s_waitcnt lgkmcnt(1)
	v_lshlrev_b64 v[2:3], 1, v[10:11]
	v_mov_b32_e32 v5, s1
	v_add_co_u32_e32 v2, vcc, s58, v2
	v_addc_co_u32_e32 v3, vcc, v4, v3, vcc
	v_add_co_u32_e32 v2, vcc, v2, v16
	v_addc_co_u32_e32 v3, vcc, 0, v3, vcc
	v_lshlrev_b32_e32 v4, 3, v8
	v_add_co_u32_e32 v4, vcc, s0, v4
	v_addc_co_u32_e32 v5, vcc, 0, v5, vcc
	v_lshlrev_b32_e32 v6, 3, v7
	global_store_short v[2:3], v41, off offset:3584
	s_waitcnt lgkmcnt(0)
	v_lshlrev_b64 v[2:3], 1, v[12:13]
	v_add_co_u32_e32 v4, vcc, v4, v6
	v_addc_co_u32_e32 v5, vcc, 0, v5, vcc
	v_mov_b32_e32 v12, s59
	global_load_dwordx2 v[6:7], v[4:5], off
	global_load_dwordx2 v[10:11], v[4:5], off offset:512
	v_add_co_u32_e32 v8, vcc, s58, v2
	v_addc_co_u32_e32 v46, vcc, v12, v3, vcc
	global_load_dwordx2 v[2:3], v[4:5], off offset:1024
	global_load_dwordx2 v[12:13], v[4:5], off offset:1536
	;; [unrolled: 1-line block ×6, first 2 shown]
	s_movk_i32 s0, 0x1000
	v_add_co_u32_e32 v4, vcc, s0, v4
	v_addc_co_u32_e32 v5, vcc, 0, v5, vcc
	global_load_dwordx2 v[37:38], v[4:5], off
	global_load_dwordx2 v[39:40], v[4:5], off offset:512
	global_load_dwordx2 v[41:42], v[4:5], off offset:1024
	;; [unrolled: 1-line block ×3, first 2 shown]
	v_add_co_u32_e32 v4, vcc, v8, v47
	v_addc_co_u32_e32 v5, vcc, 0, v46, vcc
	global_store_short v[4:5], v45, off
	v_lshrrev_b32_sdwa v4, s68, v55 dst_sel:DWORD dst_unused:UNUSED_PAD src0_sel:DWORD src1_sel:WORD_0
	v_and_b32_e32 v4, s9, v4
	v_lshlrev_b32_e32 v61, 3, v4
	ds_read_b64 v[4:5], v61
	v_lshrrev_b32_sdwa v45, s68, v56 dst_sel:DWORD dst_unused:UNUSED_PAD src0_sel:DWORD src1_sel:WORD_0
	v_and_b32_e32 v45, s9, v45
	v_lshlrev_b32_e32 v62, 3, v45
	v_lshrrev_b32_sdwa v45, s68, v57 dst_sel:DWORD dst_unused:UNUSED_PAD src0_sel:DWORD src1_sel:WORD_0
	s_waitcnt lgkmcnt(0)
	v_lshlrev_b64 v[4:5], 1, v[4:5]
	v_and_b32_e32 v45, s9, v45
	v_or_b32_e32 v8, 0x900, v0
	v_lshlrev_b32_e32 v63, 3, v45
	ds_read_b64 v[45:46], v62
	ds_read_b64 v[47:48], v63
	v_add_co_u32_e32 v4, vcc, s58, v4
	v_addc_co_u32_e32 v5, vcc, v64, v5, vcc
	v_lshlrev_b32_e32 v64, 1, v8
	v_add_co_u32_e32 v4, vcc, v4, v64
	v_addc_co_u32_e32 v5, vcc, 0, v5, vcc
	global_store_short v[4:5], v55, off
	s_waitcnt lgkmcnt(1)
	v_lshlrev_b64 v[4:5], 1, v[45:46]
	v_or_b32_e32 v55, 0xa00, v0
	v_mov_b32_e32 v45, s59
	v_add_co_u32_e32 v4, vcc, s58, v4
	v_addc_co_u32_e32 v5, vcc, v45, v5, vcc
	v_lshlrev_b32_e32 v45, 1, v55
	v_add_co_u32_e32 v4, vcc, v4, v45
	v_addc_co_u32_e32 v5, vcc, 0, v5, vcc
	global_store_short v[4:5], v56, off
	s_waitcnt lgkmcnt(0)
	v_lshlrev_b64 v[4:5], 1, v[47:48]
	v_or_b32_e32 v45, 0xb00, v0
	v_mov_b32_e32 v46, s59
	v_add_co_u32_e32 v4, vcc, s58, v4
	v_addc_co_u32_e32 v5, vcc, v46, v5, vcc
	v_lshlrev_b32_e32 v46, 1, v45
	v_add_co_u32_e32 v4, vcc, v4, v46
	v_addc_co_u32_e32 v5, vcc, 0, v5, vcc
	global_store_short v[4:5], v57, off
	v_lshlrev_b32_e32 v4, 3, v36
	s_waitcnt vmcnt(0)
	s_barrier
	v_mad_u32_u24 v0, v0, 6, v49
	ds_write_b64 v4, v[6:7] offset:2048
	v_lshlrev_b32_e32 v4, 3, v33
	ds_write_b64 v4, v[10:11] offset:2048
	v_lshlrev_b32_e32 v4, 3, v30
	;; [unrolled: 2-line block ×11, first 2 shown]
	ds_write_b64 v2, v[43:44] offset:2048
	s_waitcnt lgkmcnt(0)
	s_barrier
	ds_read_b64 v[6:7], v50
	ds_read2st64_b64 v[2:5], v0 offset0:4 offset1:8
	ds_read_b64 v[10:11], v51
	ds_read_b64 v[12:13], v52
	;; [unrolled: 1-line block ×3, first 2 shown]
	s_waitcnt lgkmcnt(4)
	v_lshlrev_b64 v[6:7], 3, v[6:7]
	v_mov_b32_e32 v16, s63
	v_add_co_u32_e32 v6, vcc, s62, v6
	v_addc_co_u32_e32 v7, vcc, v16, v7, vcc
	v_add_co_u32_e32 v6, vcc, v6, v1
	v_addc_co_u32_e32 v7, vcc, 0, v7, vcc
	s_waitcnt lgkmcnt(3)
	global_store_dwordx2 v[6:7], v[2:3], off
	s_waitcnt lgkmcnt(2)
	v_lshlrev_b64 v[2:3], 3, v[10:11]
	v_mov_b32_e32 v6, s63
	v_add_co_u32_e32 v2, vcc, s62, v2
	v_addc_co_u32_e32 v3, vcc, v6, v3, vcc
	v_add_co_u32_e32 v2, vcc, v2, v1
	v_addc_co_u32_e32 v3, vcc, 0, v3, vcc
	s_waitcnt lgkmcnt(1)
	v_lshlrev_b64 v[6:7], 3, v[12:13]
	global_store_dwordx2 v[2:3], v[4:5], off offset:2048
	ds_read2st64_b64 v[2:5], v0 offset0:12 offset1:16
	v_mov_b32_e32 v10, s63
	v_add_co_u32_e32 v6, vcc, s62, v6
	v_addc_co_u32_e32 v7, vcc, v10, v7, vcc
	v_or_b32_e32 v10, 0x1000, v1
	v_add_co_u32_e32 v6, vcc, v6, v10
	v_addc_co_u32_e32 v7, vcc, 0, v7, vcc
	s_waitcnt lgkmcnt(0)
	global_store_dwordx2 v[6:7], v[2:3], off
	v_lshlrev_b64 v[2:3], 3, v[14:15]
	v_mov_b32_e32 v6, s63
	v_add_co_u32_e32 v2, vcc, s62, v2
	v_addc_co_u32_e32 v3, vcc, v6, v3, vcc
	v_or_b32_e32 v6, 0x1800, v1
	v_add_co_u32_e32 v2, vcc, v2, v6
	v_addc_co_u32_e32 v3, vcc, 0, v3, vcc
	global_store_dwordx2 v[2:3], v[4:5], off
	ds_read_b64 v[6:7], v54
	ds_read2st64_b64 v[2:5], v0 offset0:20 offset1:24
	ds_read_b64 v[10:11], v18
	ds_read_b64 v[12:13], v29
	;; [unrolled: 1-line block ×3, first 2 shown]
	s_waitcnt lgkmcnt(4)
	v_lshlrev_b64 v[6:7], 3, v[6:7]
	v_add_co_u32_e32 v6, vcc, s62, v6
	v_addc_co_u32_e32 v7, vcc, v16, v7, vcc
	v_or_b32_e32 v16, 0x2000, v1
	v_add_co_u32_e32 v6, vcc, v6, v16
	v_addc_co_u32_e32 v7, vcc, 0, v7, vcc
	s_waitcnt lgkmcnt(3)
	global_store_dwordx2 v[6:7], v[2:3], off
	s_waitcnt lgkmcnt(2)
	v_lshlrev_b64 v[2:3], 3, v[10:11]
	v_mov_b32_e32 v6, s63
	v_add_co_u32_e32 v2, vcc, s62, v2
	v_addc_co_u32_e32 v3, vcc, v6, v3, vcc
	v_or_b32_e32 v6, 0x2800, v1
	v_add_co_u32_e32 v2, vcc, v2, v6
	v_addc_co_u32_e32 v3, vcc, 0, v3, vcc
	s_waitcnt lgkmcnt(1)
	v_lshlrev_b64 v[6:7], 3, v[12:13]
	global_store_dwordx2 v[2:3], v[4:5], off
	ds_read2st64_b64 v[2:5], v0 offset0:28 offset1:32
	v_mov_b32_e32 v10, s63
	v_add_co_u32_e32 v6, vcc, s62, v6
	v_addc_co_u32_e32 v7, vcc, v10, v7, vcc
	v_or_b32_e32 v10, 0x3000, v1
	v_add_co_u32_e32 v6, vcc, v6, v10
	v_addc_co_u32_e32 v7, vcc, 0, v7, vcc
	s_waitcnt lgkmcnt(0)
	global_store_dwordx2 v[6:7], v[2:3], off
	v_lshlrev_b64 v[2:3], 3, v[14:15]
	v_mov_b32_e32 v6, s63
	v_add_co_u32_e32 v2, vcc, s62, v2
	v_addc_co_u32_e32 v3, vcc, v6, v3, vcc
	v_or_b32_e32 v6, 0x3800, v1
	v_add_co_u32_e32 v2, vcc, v2, v6
	v_addc_co_u32_e32 v3, vcc, 0, v3, vcc
	global_store_dwordx2 v[2:3], v[4:5], off
	ds_read_b64 v[6:7], v59
	ds_read2st64_b64 v[2:5], v0 offset0:36 offset1:40
	ds_read_b64 v[10:11], v61
	ds_read_b64 v[12:13], v62
	;; [unrolled: 1-line block ×3, first 2 shown]
	s_waitcnt lgkmcnt(4)
	v_lshlrev_b64 v[6:7], 3, v[6:7]
	v_mov_b32_e32 v16, s63
	v_add_co_u32_e32 v6, vcc, s62, v6
	v_addc_co_u32_e32 v7, vcc, v16, v7, vcc
	v_lshlrev_b32_e32 v16, 3, v60
	v_add_co_u32_e32 v6, vcc, v6, v16
	v_addc_co_u32_e32 v7, vcc, 0, v7, vcc
	s_waitcnt lgkmcnt(3)
	global_store_dwordx2 v[6:7], v[2:3], off
	s_waitcnt lgkmcnt(2)
	v_lshlrev_b64 v[2:3], 3, v[10:11]
	v_mov_b32_e32 v6, s63
	v_add_co_u32_e32 v2, vcc, s62, v2
	v_addc_co_u32_e32 v3, vcc, v6, v3, vcc
	v_lshlrev_b32_e32 v6, 3, v8
	v_add_co_u32_e32 v2, vcc, v2, v6
	v_addc_co_u32_e32 v3, vcc, 0, v3, vcc
	s_waitcnt lgkmcnt(1)
	v_lshlrev_b64 v[6:7], 3, v[12:13]
	global_store_dwordx2 v[2:3], v[4:5], off
	ds_read2st64_b64 v[2:5], v0 offset0:44 offset1:48
	v_mov_b32_e32 v0, s63
	v_add_co_u32_e32 v6, vcc, s62, v6
	v_addc_co_u32_e32 v0, vcc, v0, v7, vcc
	v_lshlrev_b32_e32 v7, 3, v55
	v_add_co_u32_e32 v6, vcc, v6, v7
	v_addc_co_u32_e32 v7, vcc, 0, v0, vcc
	s_waitcnt lgkmcnt(0)
	global_store_dwordx2 v[6:7], v[2:3], off
	v_lshlrev_b64 v[2:3], 3, v[14:15]
	v_mov_b32_e32 v0, s63
	v_add_co_u32_e32 v2, vcc, s62, v2
	v_addc_co_u32_e32 v0, vcc, v0, v3, vcc
	v_lshlrev_b32_e32 v3, 3, v45
	v_add_co_u32_e32 v2, vcc, v2, v3
	v_addc_co_u32_e32 v3, vcc, 0, v0, vcc
	global_store_dwordx2 v[2:3], v[4:5], off
	s_cbranch_scc1 .LBB24_195
; %bb.194:
	ds_read_b64 v[2:3], v1
	v_add_co_u32_e32 v0, vcc, v9, v19
	v_addc_co_u32_e64 v4, s[0:1], 0, 0, vcc
	s_waitcnt lgkmcnt(0)
	v_add_co_u32_e32 v2, vcc, v0, v2
	v_addc_co_u32_e32 v3, vcc, v4, v3, vcc
	global_store_dwordx2 v1, v[2:3], s[66:67]
.LBB24_195:
	s_endpgm
.LBB24_196:
	s_or_b64 exec, exec, s[0:1]
	s_and_saveexec_b64 s[0:1], s[26:27]
	s_cbranch_execz .LBB24_139
.LBB24_197:
	v_lshlrev_b32_e32 v3, 3, v62
	ds_read_b64 v[3:4], v3
	ds_read_b64 v[5:6], v32 offset:4096
	v_mov_b32_e32 v7, s63
	s_waitcnt lgkmcnt(1)
	v_lshlrev_b64 v[3:4], 3, v[3:4]
	v_add_co_u32_e32 v3, vcc, s62, v3
	v_addc_co_u32_e32 v4, vcc, v7, v4, vcc
	v_add_co_u32_e32 v3, vcc, v3, v32
	v_addc_co_u32_e32 v4, vcc, 0, v4, vcc
	s_waitcnt lgkmcnt(0)
	global_store_dwordx2 v[3:4], v[5:6], off offset:2048
	s_or_b64 exec, exec, s[0:1]
	s_and_saveexec_b64 s[0:1], s[28:29]
	s_cbranch_execnz .LBB24_140
.LBB24_198:
	s_or_b64 exec, exec, s[0:1]
	s_and_saveexec_b64 s[0:1], s[30:31]
	s_cbranch_execz .LBB24_141
.LBB24_199:
	v_lshlrev_b32_e32 v3, 3, v60
	ds_read_b64 v[3:4], v3
	ds_read_b64 v[5:6], v32 offset:8192
	v_mov_b32_e32 v7, s63
	s_waitcnt lgkmcnt(1)
	v_lshlrev_b64 v[3:4], 3, v[3:4]
	v_add_co_u32_e32 v3, vcc, s62, v3
	v_addc_co_u32_e32 v4, vcc, v7, v4, vcc
	v_lshlrev_b32_e32 v7, 3, v42
	v_add_co_u32_e32 v3, vcc, v3, v7
	v_addc_co_u32_e32 v4, vcc, 0, v4, vcc
	s_waitcnt lgkmcnt(0)
	global_store_dwordx2 v[3:4], v[5:6], off
	s_or_b64 exec, exec, s[0:1]
	s_and_saveexec_b64 s[0:1], s[34:35]
	s_cbranch_execnz .LBB24_142
.LBB24_200:
	s_or_b64 exec, exec, s[0:1]
	s_and_saveexec_b64 s[0:1], s[36:37]
	s_cbranch_execz .LBB24_143
.LBB24_201:
	v_lshlrev_b32_e32 v3, 3, v58
	ds_read_b64 v[3:4], v3
	ds_read_b64 v[5:6], v32 offset:12288
	v_mov_b32_e32 v7, s63
	s_waitcnt lgkmcnt(1)
	v_lshlrev_b64 v[3:4], 3, v[3:4]
	v_add_co_u32_e32 v3, vcc, s62, v3
	v_addc_co_u32_e32 v4, vcc, v7, v4, vcc
	v_lshlrev_b32_e32 v7, 3, v48
	v_add_co_u32_e32 v3, vcc, v3, v7
	v_addc_co_u32_e32 v4, vcc, 0, v4, vcc
	s_waitcnt lgkmcnt(0)
	global_store_dwordx2 v[3:4], v[5:6], off
	s_or_b64 exec, exec, s[0:1]
	s_and_saveexec_b64 s[0:1], s[38:39]
	s_cbranch_execnz .LBB24_144
.LBB24_202:
	s_or_b64 exec, exec, s[0:1]
	s_and_saveexec_b64 s[0:1], s[40:41]
	s_cbranch_execz .LBB24_145
.LBB24_203:
	v_lshlrev_b32_e32 v3, 3, v56
	ds_read_b64 v[3:4], v3
	ds_read_b64 v[5:6], v32 offset:16384
	v_mov_b32_e32 v7, s63
	s_waitcnt lgkmcnt(1)
	v_lshlrev_b64 v[3:4], 3, v[3:4]
	v_add_co_u32_e32 v3, vcc, s62, v3
	v_addc_co_u32_e32 v4, vcc, v7, v4, vcc
	v_lshlrev_b32_e32 v7, 3, v50
	v_add_co_u32_e32 v3, vcc, v3, v7
	v_addc_co_u32_e32 v4, vcc, 0, v4, vcc
	s_waitcnt lgkmcnt(0)
	global_store_dwordx2 v[3:4], v[5:6], off
	s_or_b64 exec, exec, s[0:1]
	s_and_saveexec_b64 s[0:1], s[42:43]
	s_cbranch_execnz .LBB24_146
.LBB24_204:
	s_or_b64 exec, exec, s[0:1]
	s_and_saveexec_b64 s[0:1], s[44:45]
	s_cbranch_execz .LBB24_147
.LBB24_205:
	v_lshlrev_b32_e32 v3, 3, v28
	ds_read_b64 v[3:4], v3
	ds_read_b64 v[5:6], v32 offset:20480
	v_mov_b32_e32 v7, s63
	s_waitcnt lgkmcnt(1)
	v_lshlrev_b64 v[3:4], 3, v[3:4]
	v_add_co_u32_e32 v3, vcc, s62, v3
	v_addc_co_u32_e32 v4, vcc, v7, v4, vcc
	v_lshlrev_b32_e32 v7, 3, v52
	v_add_co_u32_e32 v3, vcc, v3, v7
	v_addc_co_u32_e32 v4, vcc, 0, v4, vcc
	s_waitcnt lgkmcnt(0)
	global_store_dwordx2 v[3:4], v[5:6], off
	s_or_b64 exec, exec, s[0:1]
	s_and_saveexec_b64 s[0:1], s[46:47]
	s_cbranch_execnz .LBB24_148
.LBB24_206:
	s_or_b64 exec, exec, s[0:1]
	s_and_saveexec_b64 s[0:1], s[48:49]
	s_cbranch_execz .LBB24_149
.LBB24_207:
	v_lshlrev_b32_e32 v3, 3, v27
	ds_read_b64 v[3:4], v3
	ds_read_b64 v[5:6], v32 offset:24576
	v_mov_b32_e32 v7, s63
	s_waitcnt lgkmcnt(1)
	v_lshlrev_b64 v[3:4], 3, v[3:4]
	v_add_co_u32_e32 v3, vcc, s62, v3
	v_addc_co_u32_e32 v4, vcc, v7, v4, vcc
	v_lshlrev_b32_e32 v7, 3, v54
	v_add_co_u32_e32 v3, vcc, v3, v7
	v_addc_co_u32_e32 v4, vcc, 0, v4, vcc
	s_waitcnt lgkmcnt(0)
	global_store_dwordx2 v[3:4], v[5:6], off
	s_or_b64 exec, exec, s[0:1]
	s_add_i32 s33, s33, -1
	s_cmp_eq_u32 s6, s33
	s_cbranch_scc1 .LBB24_150
	s_branch .LBB24_151
	.section	.rodata,"a",@progbits
	.p2align	6, 0x0
	.amdhsa_kernel _ZN7rocprim17ROCPRIM_304000_NS6detail25onesweep_iteration_kernelINS1_34wrapped_radix_sort_onesweep_configINS0_14default_configEtN2at4cuda3cub6detail10OpaqueTypeILi8EEEEELb0EPKtPtPKSA_PSA_mNS0_19identity_decomposerEEEvT1_T2_T3_T4_jPT5_SO_PNS1_23onesweep_lookback_stateET6_jjj
		.amdhsa_group_segment_fixed_size 26624
		.amdhsa_private_segment_fixed_size 0
		.amdhsa_kernarg_size 336
		.amdhsa_user_sgpr_count 6
		.amdhsa_user_sgpr_private_segment_buffer 1
		.amdhsa_user_sgpr_dispatch_ptr 0
		.amdhsa_user_sgpr_queue_ptr 0
		.amdhsa_user_sgpr_kernarg_segment_ptr 1
		.amdhsa_user_sgpr_dispatch_id 0
		.amdhsa_user_sgpr_flat_scratch_init 0
		.amdhsa_user_sgpr_private_segment_size 0
		.amdhsa_uses_dynamic_stack 0
		.amdhsa_system_sgpr_private_segment_wavefront_offset 0
		.amdhsa_system_sgpr_workgroup_id_x 1
		.amdhsa_system_sgpr_workgroup_id_y 0
		.amdhsa_system_sgpr_workgroup_id_z 0
		.amdhsa_system_sgpr_workgroup_info 0
		.amdhsa_system_vgpr_workitem_id 2
		.amdhsa_next_free_vgpr 85
		.amdhsa_next_free_sgpr 98
		.amdhsa_reserve_vcc 1
		.amdhsa_reserve_flat_scratch 0
		.amdhsa_float_round_mode_32 0
		.amdhsa_float_round_mode_16_64 0
		.amdhsa_float_denorm_mode_32 3
		.amdhsa_float_denorm_mode_16_64 3
		.amdhsa_dx10_clamp 1
		.amdhsa_ieee_mode 1
		.amdhsa_fp16_overflow 0
		.amdhsa_exception_fp_ieee_invalid_op 0
		.amdhsa_exception_fp_denorm_src 0
		.amdhsa_exception_fp_ieee_div_zero 0
		.amdhsa_exception_fp_ieee_overflow 0
		.amdhsa_exception_fp_ieee_underflow 0
		.amdhsa_exception_fp_ieee_inexact 0
		.amdhsa_exception_int_div_zero 0
	.end_amdhsa_kernel
	.section	.text._ZN7rocprim17ROCPRIM_304000_NS6detail25onesweep_iteration_kernelINS1_34wrapped_radix_sort_onesweep_configINS0_14default_configEtN2at4cuda3cub6detail10OpaqueTypeILi8EEEEELb0EPKtPtPKSA_PSA_mNS0_19identity_decomposerEEEvT1_T2_T3_T4_jPT5_SO_PNS1_23onesweep_lookback_stateET6_jjj,"axG",@progbits,_ZN7rocprim17ROCPRIM_304000_NS6detail25onesweep_iteration_kernelINS1_34wrapped_radix_sort_onesweep_configINS0_14default_configEtN2at4cuda3cub6detail10OpaqueTypeILi8EEEEELb0EPKtPtPKSA_PSA_mNS0_19identity_decomposerEEEvT1_T2_T3_T4_jPT5_SO_PNS1_23onesweep_lookback_stateET6_jjj,comdat
.Lfunc_end24:
	.size	_ZN7rocprim17ROCPRIM_304000_NS6detail25onesweep_iteration_kernelINS1_34wrapped_radix_sort_onesweep_configINS0_14default_configEtN2at4cuda3cub6detail10OpaqueTypeILi8EEEEELb0EPKtPtPKSA_PSA_mNS0_19identity_decomposerEEEvT1_T2_T3_T4_jPT5_SO_PNS1_23onesweep_lookback_stateET6_jjj, .Lfunc_end24-_ZN7rocprim17ROCPRIM_304000_NS6detail25onesweep_iteration_kernelINS1_34wrapped_radix_sort_onesweep_configINS0_14default_configEtN2at4cuda3cub6detail10OpaqueTypeILi8EEEEELb0EPKtPtPKSA_PSA_mNS0_19identity_decomposerEEEvT1_T2_T3_T4_jPT5_SO_PNS1_23onesweep_lookback_stateET6_jjj
                                        ; -- End function
	.set _ZN7rocprim17ROCPRIM_304000_NS6detail25onesweep_iteration_kernelINS1_34wrapped_radix_sort_onesweep_configINS0_14default_configEtN2at4cuda3cub6detail10OpaqueTypeILi8EEEEELb0EPKtPtPKSA_PSA_mNS0_19identity_decomposerEEEvT1_T2_T3_T4_jPT5_SO_PNS1_23onesweep_lookback_stateET6_jjj.num_vgpr, 65
	.set _ZN7rocprim17ROCPRIM_304000_NS6detail25onesweep_iteration_kernelINS1_34wrapped_radix_sort_onesweep_configINS0_14default_configEtN2at4cuda3cub6detail10OpaqueTypeILi8EEEEELb0EPKtPtPKSA_PSA_mNS0_19identity_decomposerEEEvT1_T2_T3_T4_jPT5_SO_PNS1_23onesweep_lookback_stateET6_jjj.num_agpr, 0
	.set _ZN7rocprim17ROCPRIM_304000_NS6detail25onesweep_iteration_kernelINS1_34wrapped_radix_sort_onesweep_configINS0_14default_configEtN2at4cuda3cub6detail10OpaqueTypeILi8EEEEELb0EPKtPtPKSA_PSA_mNS0_19identity_decomposerEEEvT1_T2_T3_T4_jPT5_SO_PNS1_23onesweep_lookback_stateET6_jjj.numbered_sgpr, 75
	.set _ZN7rocprim17ROCPRIM_304000_NS6detail25onesweep_iteration_kernelINS1_34wrapped_radix_sort_onesweep_configINS0_14default_configEtN2at4cuda3cub6detail10OpaqueTypeILi8EEEEELb0EPKtPtPKSA_PSA_mNS0_19identity_decomposerEEEvT1_T2_T3_T4_jPT5_SO_PNS1_23onesweep_lookback_stateET6_jjj.num_named_barrier, 0
	.set _ZN7rocprim17ROCPRIM_304000_NS6detail25onesweep_iteration_kernelINS1_34wrapped_radix_sort_onesweep_configINS0_14default_configEtN2at4cuda3cub6detail10OpaqueTypeILi8EEEEELb0EPKtPtPKSA_PSA_mNS0_19identity_decomposerEEEvT1_T2_T3_T4_jPT5_SO_PNS1_23onesweep_lookback_stateET6_jjj.private_seg_size, 0
	.set _ZN7rocprim17ROCPRIM_304000_NS6detail25onesweep_iteration_kernelINS1_34wrapped_radix_sort_onesweep_configINS0_14default_configEtN2at4cuda3cub6detail10OpaqueTypeILi8EEEEELb0EPKtPtPKSA_PSA_mNS0_19identity_decomposerEEEvT1_T2_T3_T4_jPT5_SO_PNS1_23onesweep_lookback_stateET6_jjj.uses_vcc, 1
	.set _ZN7rocprim17ROCPRIM_304000_NS6detail25onesweep_iteration_kernelINS1_34wrapped_radix_sort_onesweep_configINS0_14default_configEtN2at4cuda3cub6detail10OpaqueTypeILi8EEEEELb0EPKtPtPKSA_PSA_mNS0_19identity_decomposerEEEvT1_T2_T3_T4_jPT5_SO_PNS1_23onesweep_lookback_stateET6_jjj.uses_flat_scratch, 0
	.set _ZN7rocprim17ROCPRIM_304000_NS6detail25onesweep_iteration_kernelINS1_34wrapped_radix_sort_onesweep_configINS0_14default_configEtN2at4cuda3cub6detail10OpaqueTypeILi8EEEEELb0EPKtPtPKSA_PSA_mNS0_19identity_decomposerEEEvT1_T2_T3_T4_jPT5_SO_PNS1_23onesweep_lookback_stateET6_jjj.has_dyn_sized_stack, 0
	.set _ZN7rocprim17ROCPRIM_304000_NS6detail25onesweep_iteration_kernelINS1_34wrapped_radix_sort_onesweep_configINS0_14default_configEtN2at4cuda3cub6detail10OpaqueTypeILi8EEEEELb0EPKtPtPKSA_PSA_mNS0_19identity_decomposerEEEvT1_T2_T3_T4_jPT5_SO_PNS1_23onesweep_lookback_stateET6_jjj.has_recursion, 0
	.set _ZN7rocprim17ROCPRIM_304000_NS6detail25onesweep_iteration_kernelINS1_34wrapped_radix_sort_onesweep_configINS0_14default_configEtN2at4cuda3cub6detail10OpaqueTypeILi8EEEEELb0EPKtPtPKSA_PSA_mNS0_19identity_decomposerEEEvT1_T2_T3_T4_jPT5_SO_PNS1_23onesweep_lookback_stateET6_jjj.has_indirect_call, 0
	.section	.AMDGPU.csdata,"",@progbits
; Kernel info:
; codeLenInByte = 18988
; TotalNumSgprs: 79
; NumVgprs: 65
; ScratchSize: 0
; MemoryBound: 0
; FloatMode: 240
; IeeeMode: 1
; LDSByteSize: 26624 bytes/workgroup (compile time only)
; SGPRBlocks: 12
; VGPRBlocks: 21
; NumSGPRsForWavesPerEU: 102
; NumVGPRsForWavesPerEU: 85
; Occupancy: 2
; WaveLimiterHint : 1
; COMPUTE_PGM_RSRC2:SCRATCH_EN: 0
; COMPUTE_PGM_RSRC2:USER_SGPR: 6
; COMPUTE_PGM_RSRC2:TRAP_HANDLER: 0
; COMPUTE_PGM_RSRC2:TGID_X_EN: 1
; COMPUTE_PGM_RSRC2:TGID_Y_EN: 0
; COMPUTE_PGM_RSRC2:TGID_Z_EN: 0
; COMPUTE_PGM_RSRC2:TIDIG_COMP_CNT: 2
	.section	.text._ZN7rocprim17ROCPRIM_304000_NS6detail25onesweep_iteration_kernelINS1_34wrapped_radix_sort_onesweep_configINS0_14default_configEtN2at4cuda3cub6detail10OpaqueTypeILi8EEEEELb0EPtSC_PSA_SD_mNS0_19identity_decomposerEEEvT1_T2_T3_T4_jPT5_SK_PNS1_23onesweep_lookback_stateET6_jjj,"axG",@progbits,_ZN7rocprim17ROCPRIM_304000_NS6detail25onesweep_iteration_kernelINS1_34wrapped_radix_sort_onesweep_configINS0_14default_configEtN2at4cuda3cub6detail10OpaqueTypeILi8EEEEELb0EPtSC_PSA_SD_mNS0_19identity_decomposerEEEvT1_T2_T3_T4_jPT5_SK_PNS1_23onesweep_lookback_stateET6_jjj,comdat
	.protected	_ZN7rocprim17ROCPRIM_304000_NS6detail25onesweep_iteration_kernelINS1_34wrapped_radix_sort_onesweep_configINS0_14default_configEtN2at4cuda3cub6detail10OpaqueTypeILi8EEEEELb0EPtSC_PSA_SD_mNS0_19identity_decomposerEEEvT1_T2_T3_T4_jPT5_SK_PNS1_23onesweep_lookback_stateET6_jjj ; -- Begin function _ZN7rocprim17ROCPRIM_304000_NS6detail25onesweep_iteration_kernelINS1_34wrapped_radix_sort_onesweep_configINS0_14default_configEtN2at4cuda3cub6detail10OpaqueTypeILi8EEEEELb0EPtSC_PSA_SD_mNS0_19identity_decomposerEEEvT1_T2_T3_T4_jPT5_SK_PNS1_23onesweep_lookback_stateET6_jjj
	.globl	_ZN7rocprim17ROCPRIM_304000_NS6detail25onesweep_iteration_kernelINS1_34wrapped_radix_sort_onesweep_configINS0_14default_configEtN2at4cuda3cub6detail10OpaqueTypeILi8EEEEELb0EPtSC_PSA_SD_mNS0_19identity_decomposerEEEvT1_T2_T3_T4_jPT5_SK_PNS1_23onesweep_lookback_stateET6_jjj
	.p2align	8
	.type	_ZN7rocprim17ROCPRIM_304000_NS6detail25onesweep_iteration_kernelINS1_34wrapped_radix_sort_onesweep_configINS0_14default_configEtN2at4cuda3cub6detail10OpaqueTypeILi8EEEEELb0EPtSC_PSA_SD_mNS0_19identity_decomposerEEEvT1_T2_T3_T4_jPT5_SK_PNS1_23onesweep_lookback_stateET6_jjj,@function
_ZN7rocprim17ROCPRIM_304000_NS6detail25onesweep_iteration_kernelINS1_34wrapped_radix_sort_onesweep_configINS0_14default_configEtN2at4cuda3cub6detail10OpaqueTypeILi8EEEEELb0EPtSC_PSA_SD_mNS0_19identity_decomposerEEEvT1_T2_T3_T4_jPT5_SK_PNS1_23onesweep_lookback_stateET6_jjj: ; @_ZN7rocprim17ROCPRIM_304000_NS6detail25onesweep_iteration_kernelINS1_34wrapped_radix_sort_onesweep_configINS0_14default_configEtN2at4cuda3cub6detail10OpaqueTypeILi8EEEEELb0EPtSC_PSA_SD_mNS0_19identity_decomposerEEEvT1_T2_T3_T4_jPT5_SK_PNS1_23onesweep_lookback_stateET6_jjj
; %bb.0:
	s_load_dwordx8 s[56:63], s[4:5], 0x0
	s_load_dwordx4 s[68:71], s[4:5], 0x44
	s_load_dwordx4 s[64:67], s[4:5], 0x28
	s_load_dwordx2 s[72:73], s[4:5], 0x38
	s_mov_b32 s7, s6
	s_mov_b64 s[0:1], -1
	s_waitcnt lgkmcnt(0)
	s_cmp_ge_u32 s6, s70
	s_mul_i32 s54, s6, 0xc00
	v_mbcnt_lo_u32_b32 v29, -1, 0
	s_cbranch_scc0 .LBB25_152
; %bb.1:
	s_load_dword s2, s[4:5], 0x20
	s_mulk_i32 s70, 0xf400
	s_mov_b32 s55, 0
	s_lshl_b64 s[0:1], s[54:55], 1
	v_mbcnt_hi_u32_b32 v9, -1, v29
	s_waitcnt lgkmcnt(0)
	s_add_i32 s70, s70, s2
	s_add_u32 s0, s56, s0
	s_addc_u32 s1, s57, s1
	v_and_b32_e32 v17, 0xc0, v0
	v_lshlrev_b32_e32 v3, 1, v9
	v_mul_u32_u24_e32 v10, 12, v17
	v_mov_b32_e32 v4, s1
	v_add_co_u32_e32 v3, vcc, s0, v3
	v_addc_co_u32_e32 v4, vcc, 0, v4, vcc
	v_lshlrev_b32_e32 v5, 1, v10
	v_add_co_u32_e32 v3, vcc, v3, v5
	v_addc_co_u32_e32 v4, vcc, 0, v4, vcc
	v_or_b32_e32 v22, v9, v10
	v_cmp_gt_u32_e32 vcc, s70, v22
	v_mov_b32_e32 v24, 0xffff
	v_mov_b32_e32 v7, -1
	v_mov_b32_e32 v8, -1
	v_mov_b32_e32 v5, 0xffff
	s_and_saveexec_b64 s[0:1], vcc
	s_cbranch_execz .LBB25_3
; %bb.2:
	global_load_ushort v8, v[3:4], off
	s_waitcnt vmcnt(0)
	v_and_b32_e32 v5, 0xffff, v8
.LBB25_3:
	s_or_b64 exec, exec, s[0:1]
	v_add_u32_e32 v6, 64, v22
	v_cmp_gt_u32_e64 s[0:1], s70, v6
	s_and_saveexec_b64 s[2:3], s[0:1]
	s_cbranch_execz .LBB25_5
; %bb.4:
	global_load_ushort v7, v[3:4], off offset:128
	s_waitcnt vmcnt(0)
	v_and_b32_e32 v24, 0xffff, v7
.LBB25_5:
	s_or_b64 exec, exec, s[2:3]
	v_add_u32_e32 v6, 0x80, v22
	v_cmp_gt_u32_e64 s[2:3], s70, v6
	v_mov_b32_e32 v34, 0xffff
	v_mov_b32_e32 v11, -1
	v_mov_b32_e32 v12, -1
	v_mov_b32_e32 v27, 0xffff
	s_and_saveexec_b64 s[8:9], s[2:3]
	s_cbranch_execz .LBB25_7
; %bb.6:
	global_load_ushort v12, v[3:4], off offset:256
	s_waitcnt vmcnt(0)
	v_and_b32_e32 v27, 0xffff, v12
.LBB25_7:
	s_or_b64 exec, exec, s[8:9]
	v_add_u32_e32 v6, 0xc0, v22
	v_cmp_gt_u32_e64 s[50:51], s70, v6
	s_and_saveexec_b64 s[8:9], s[50:51]
	s_cbranch_execz .LBB25_9
; %bb.8:
	global_load_ushort v11, v[3:4], off offset:384
	s_waitcnt vmcnt(0)
	v_and_b32_e32 v34, 0xffff, v11
.LBB25_9:
	s_or_b64 exec, exec, s[8:9]
	v_add_u32_e32 v6, 0x100, v22
	v_cmp_gt_u32_e64 s[8:9], s70, v6
	v_mov_b32_e32 v42, 0xffff
	v_mov_b32_e32 v13, -1
	v_mov_b32_e32 v14, -1
	v_mov_b32_e32 v38, 0xffff
	s_and_saveexec_b64 s[10:11], s[8:9]
	s_cbranch_execz .LBB25_11
; %bb.10:
	global_load_ushort v14, v[3:4], off offset:512
	s_waitcnt vmcnt(0)
	v_and_b32_e32 v38, 0xffff, v14
.LBB25_11:
	s_or_b64 exec, exec, s[10:11]
	v_add_u32_e32 v6, 0x140, v22
	v_cmp_gt_u32_e64 s[10:11], s70, v6
	s_and_saveexec_b64 s[12:13], s[10:11]
	s_cbranch_execz .LBB25_13
; %bb.12:
	global_load_ushort v13, v[3:4], off offset:640
	s_waitcnt vmcnt(0)
	v_and_b32_e32 v42, 0xffff, v13
.LBB25_13:
	s_or_b64 exec, exec, s[12:13]
	v_add_u32_e32 v6, 0x180, v22
	v_cmp_gt_u32_e64 s[12:13], s70, v6
	v_mov_b32_e32 v40, 0xffff
	v_mov_b32_e32 v15, -1
	v_mov_b32_e32 v16, -1
	v_mov_b32_e32 v44, 0xffff
	s_and_saveexec_b64 s[14:15], s[12:13]
	s_cbranch_execz .LBB25_15
; %bb.14:
	global_load_ushort v16, v[3:4], off offset:768
	s_waitcnt vmcnt(0)
	v_and_b32_e32 v44, 0xffff, v16
.LBB25_15:
	s_or_b64 exec, exec, s[14:15]
	v_add_u32_e32 v6, 0x1c0, v22
	v_cmp_gt_u32_e64 s[14:15], s70, v6
	s_and_saveexec_b64 s[16:17], s[14:15]
	s_cbranch_execz .LBB25_17
; %bb.16:
	global_load_ushort v15, v[3:4], off offset:896
	s_waitcnt vmcnt(0)
	v_and_b32_e32 v40, 0xffff, v15
.LBB25_17:
	s_or_b64 exec, exec, s[16:17]
	v_add_u32_e32 v6, 0x200, v22
	v_cmp_gt_u32_e64 s[16:17], s70, v6
	v_mov_b32_e32 v32, 0xffff
	v_mov_b32_e32 v18, -1
	v_mov_b32_e32 v19, -1
	v_mov_b32_e32 v36, 0xffff
	s_and_saveexec_b64 s[18:19], s[16:17]
	s_cbranch_execz .LBB25_19
; %bb.18:
	global_load_ushort v19, v[3:4], off offset:1024
	s_waitcnt vmcnt(0)
	v_and_b32_e32 v36, 0xffff, v19
.LBB25_19:
	s_or_b64 exec, exec, s[18:19]
	v_add_u32_e32 v6, 0x240, v22
	v_cmp_gt_u32_e64 s[18:19], s70, v6
	s_and_saveexec_b64 s[20:21], s[18:19]
	s_cbranch_execz .LBB25_21
; %bb.20:
	global_load_ushort v18, v[3:4], off offset:1152
	s_waitcnt vmcnt(0)
	v_and_b32_e32 v32, 0xffff, v18
.LBB25_21:
	s_or_b64 exec, exec, s[20:21]
	v_add_u32_e32 v6, 0x280, v22
	v_cmp_gt_u32_e64 s[20:21], s70, v6
	v_mov_b32_e32 v6, 0xffff
	v_mov_b32_e32 v20, -1
	v_mov_b32_e32 v21, -1
	v_mov_b32_e32 v28, 0xffff
	s_and_saveexec_b64 s[22:23], s[20:21]
	s_cbranch_execz .LBB25_23
; %bb.22:
	global_load_ushort v21, v[3:4], off offset:1280
	s_waitcnt vmcnt(0)
	v_and_b32_e32 v28, 0xffff, v21
.LBB25_23:
	s_or_b64 exec, exec, s[22:23]
	v_add_u32_e32 v22, 0x2c0, v22
	v_cmp_gt_u32_e64 s[22:23], s70, v22
	s_and_saveexec_b64 s[24:25], s[22:23]
	s_cbranch_execz .LBB25_25
; %bb.24:
	global_load_ushort v20, v[3:4], off offset:1408
	s_waitcnt vmcnt(0)
	v_and_b32_e32 v6, 0xffff, v20
.LBB25_25:
	s_or_b64 exec, exec, s[24:25]
	s_load_dword s24, s[4:5], 0x5c
	s_load_dword s33, s[4:5], 0x50
	s_add_u32 s25, s4, 0x50
	s_addc_u32 s26, s5, 0
	v_mov_b32_e32 v3, 0
	s_waitcnt lgkmcnt(0)
	s_lshr_b32 s27, s24, 16
	s_cmp_lt_u32 s6, s33
	s_cselect_b32 s24, 12, 18
	s_add_u32 s24, s25, s24
	s_addc_u32 s25, s26, 0
	global_load_ushort v23, v3, s[24:25]
	s_lshl_b32 s24, -1, s69
	v_lshrrev_b32_e32 v4, s68, v5
	s_not_b32 s74, s24
	v_and_b32_e32 v25, s74, v4
	v_and_b32_e32 v26, 1, v25
	v_add_co_u32_e64 v31, s[24:25], -1, v26
	v_lshlrev_b32_e32 v4, 30, v25
	v_addc_co_u32_e64 v33, s[24:25], 0, -1, s[24:25]
	v_mad_u32_u24 v5, v2, s27, v1
	v_cmp_ne_u32_e64 s[24:25], 0, v26
	v_cmp_gt_i64_e64 s[26:27], 0, v[3:4]
	v_not_b32_e32 v26, v4
	v_lshlrev_b32_e32 v4, 29, v25
	v_xor_b32_e32 v33, s25, v33
	v_xor_b32_e32 v31, s24, v31
	v_ashrrev_i32_e32 v26, 31, v26
	v_cmp_gt_i64_e64 s[24:25], 0, v[3:4]
	v_not_b32_e32 v35, v4
	v_lshlrev_b32_e32 v4, 28, v25
	v_and_b32_e32 v33, exec_hi, v33
	v_and_b32_e32 v31, exec_lo, v31
	v_xor_b32_e32 v37, s27, v26
	v_xor_b32_e32 v26, s26, v26
	v_ashrrev_i32_e32 v35, 31, v35
	v_cmp_gt_i64_e64 s[26:27], 0, v[3:4]
	v_not_b32_e32 v39, v4
	v_lshlrev_b32_e32 v4, 27, v25
	v_and_b32_e32 v33, v33, v37
	v_and_b32_e32 v26, v31, v26
	v_xor_b32_e32 v31, s25, v35
	v_xor_b32_e32 v35, s24, v35
	v_ashrrev_i32_e32 v37, 31, v39
	v_cmp_gt_i64_e64 s[24:25], 0, v[3:4]
	v_not_b32_e32 v39, v4
	v_lshlrev_b32_e32 v4, 26, v25
	v_and_b32_e32 v31, v33, v31
	v_and_b32_e32 v26, v26, v35
	;; [unrolled: 8-line block ×3, first 2 shown]
	v_xor_b32_e32 v33, s25, v37
	v_xor_b32_e32 v35, s24, v37
	v_ashrrev_i32_e32 v37, 31, v39
	v_cmp_gt_i64_e64 s[24:25], 0, v[3:4]
	v_not_b32_e32 v39, v4
	v_mul_u32_u24_e32 v30, 20, v25
	v_lshlrev_b32_e32 v4, 24, v25
	v_and_b32_e32 v25, v31, v33
	v_and_b32_e32 v26, v26, v35
	v_xor_b32_e32 v31, s27, v37
	v_xor_b32_e32 v33, s26, v37
	v_ashrrev_i32_e32 v35, 31, v39
	v_and_b32_e32 v25, v25, v31
	v_and_b32_e32 v26, v26, v33
	v_xor_b32_e32 v31, s25, v35
	v_xor_b32_e32 v33, s24, v35
	v_and_b32_e32 v31, v25, v31
	v_and_b32_e32 v33, v26, v33
	v_cmp_gt_i64_e64 s[26:27], 0, v[3:4]
	v_not_b32_e32 v4, v4
	v_ashrrev_i32_e32 v4, 31, v4
	v_xor_b32_e32 v35, s27, v4
	v_xor_b32_e32 v4, s26, v4
	v_and_b32_e32 v4, v33, v4
	v_mul_u32_u24_e32 v22, 20, v0
	ds_write2_b32 v22, v3, v3 offset0:4 offset1:5
	ds_write2_b32 v22, v3, v3 offset0:6 offset1:7
	ds_write_b32 v22, v3 offset:32
	s_waitcnt vmcnt(0) lgkmcnt(0)
	s_barrier
	; wave barrier
	v_mad_u64_u32 v[25:26], s[24:25], v5, v23, v[0:1]
	v_and_b32_e32 v5, v31, v35
	v_cmp_ne_u64_e64 s[24:25], 0, v[4:5]
	v_lshrrev_b32_e32 v23, 4, v25
	v_and_b32_e32 v31, 0xffffffc, v23
	v_mbcnt_lo_u32_b32 v23, v4, 0
	v_mbcnt_hi_u32_b32 v23, v5, v23
	v_cmp_eq_u32_e64 s[26:27], 0, v23
	s_and_b64 s[26:27], s[24:25], s[26:27]
	v_add_u32_e32 v25, v31, v30
	s_and_saveexec_b64 s[24:25], s[26:27]
; %bb.26:
	v_bcnt_u32_b32 v4, v4, 0
	v_bcnt_u32_b32 v4, v5, v4
	ds_write_b32 v25, v4 offset:16
; %bb.27:
	s_or_b64 exec, exec, s[24:25]
	v_lshrrev_b32_e32 v4, s68, v24
	v_and_b32_e32 v5, s74, v4
	v_mad_u32_u24 v4, v5, 20, v31
	; wave barrier
	ds_read_b32 v24, v4 offset:16
	v_and_b32_e32 v4, 1, v5
	v_add_co_u32_e64 v26, s[24:25], -1, v4
	v_addc_co_u32_e64 v33, s[24:25], 0, -1, s[24:25]
	v_cmp_ne_u32_e64 s[24:25], 0, v4
	v_xor_b32_e32 v4, s25, v33
	v_and_b32_e32 v33, exec_hi, v4
	v_lshlrev_b32_e32 v4, 30, v5
	v_xor_b32_e32 v26, s24, v26
	v_cmp_gt_i64_e64 s[24:25], 0, v[3:4]
	v_not_b32_e32 v4, v4
	v_ashrrev_i32_e32 v4, 31, v4
	v_and_b32_e32 v26, exec_lo, v26
	v_xor_b32_e32 v35, s25, v4
	v_xor_b32_e32 v4, s24, v4
	v_and_b32_e32 v26, v26, v4
	v_lshlrev_b32_e32 v4, 29, v5
	v_cmp_gt_i64_e64 s[24:25], 0, v[3:4]
	v_not_b32_e32 v4, v4
	v_ashrrev_i32_e32 v4, 31, v4
	v_and_b32_e32 v33, v33, v35
	v_xor_b32_e32 v35, s25, v4
	v_xor_b32_e32 v4, s24, v4
	v_and_b32_e32 v26, v26, v4
	v_lshlrev_b32_e32 v4, 28, v5
	v_cmp_gt_i64_e64 s[24:25], 0, v[3:4]
	v_not_b32_e32 v4, v4
	v_ashrrev_i32_e32 v4, 31, v4
	v_and_b32_e32 v33, v33, v35
	;; [unrolled: 8-line block ×5, first 2 shown]
	v_xor_b32_e32 v35, s25, v4
	v_xor_b32_e32 v4, s24, v4
	v_and_b32_e32 v26, v26, v4
	v_lshlrev_b32_e32 v4, 24, v5
	v_cmp_gt_i64_e64 s[24:25], 0, v[3:4]
	v_not_b32_e32 v3, v4
	v_ashrrev_i32_e32 v3, 31, v3
	v_xor_b32_e32 v4, s25, v3
	v_xor_b32_e32 v3, s24, v3
	v_and_b32_e32 v33, v33, v35
	v_and_b32_e32 v3, v26, v3
	v_mul_u32_u24_e32 v30, 20, v5
	v_and_b32_e32 v4, v33, v4
	v_mbcnt_lo_u32_b32 v5, v3, 0
	v_mbcnt_hi_u32_b32 v26, v4, v5
	v_cmp_ne_u64_e64 s[24:25], 0, v[3:4]
	v_cmp_eq_u32_e64 s[26:27], 0, v26
	s_and_b64 s[26:27], s[24:25], s[26:27]
	v_add_u32_e32 v30, v31, v30
	; wave barrier
	s_and_saveexec_b64 s[24:25], s[26:27]
	s_cbranch_execz .LBB25_29
; %bb.28:
	v_bcnt_u32_b32 v3, v3, 0
	v_bcnt_u32_b32 v3, v4, v3
	s_waitcnt lgkmcnt(0)
	v_add_u32_e32 v3, v24, v3
	ds_write_b32 v30, v3 offset:16
.LBB25_29:
	s_or_b64 exec, exec, s[24:25]
	v_lshrrev_b32_e32 v3, s68, v27
	v_and_b32_e32 v5, s74, v3
	v_and_b32_e32 v4, 1, v5
	v_add_co_u32_e64 v33, s[24:25], -1, v4
	v_addc_co_u32_e64 v37, s[24:25], 0, -1, s[24:25]
	v_cmp_ne_u32_e64 s[24:25], 0, v4
	v_mad_u32_u24 v3, v5, 20, v31
	v_xor_b32_e32 v4, s25, v37
	; wave barrier
	ds_read_b32 v27, v3 offset:16
	v_mov_b32_e32 v3, 0
	v_and_b32_e32 v37, exec_hi, v4
	v_lshlrev_b32_e32 v4, 30, v5
	v_xor_b32_e32 v33, s24, v33
	v_cmp_gt_i64_e64 s[24:25], 0, v[3:4]
	v_not_b32_e32 v4, v4
	v_ashrrev_i32_e32 v4, 31, v4
	v_and_b32_e32 v33, exec_lo, v33
	v_xor_b32_e32 v39, s25, v4
	v_xor_b32_e32 v4, s24, v4
	v_and_b32_e32 v33, v33, v4
	v_lshlrev_b32_e32 v4, 29, v5
	v_cmp_gt_i64_e64 s[24:25], 0, v[3:4]
	v_not_b32_e32 v4, v4
	v_ashrrev_i32_e32 v4, 31, v4
	v_and_b32_e32 v37, v37, v39
	v_xor_b32_e32 v39, s25, v4
	v_xor_b32_e32 v4, s24, v4
	v_and_b32_e32 v33, v33, v4
	v_lshlrev_b32_e32 v4, 28, v5
	v_cmp_gt_i64_e64 s[24:25], 0, v[3:4]
	v_not_b32_e32 v4, v4
	v_ashrrev_i32_e32 v4, 31, v4
	v_and_b32_e32 v37, v37, v39
	;; [unrolled: 8-line block ×5, first 2 shown]
	v_xor_b32_e32 v39, s25, v4
	v_xor_b32_e32 v4, s24, v4
	v_and_b32_e32 v33, v33, v4
	v_lshlrev_b32_e32 v4, 24, v5
	v_cmp_gt_i64_e64 s[24:25], 0, v[3:4]
	v_not_b32_e32 v4, v4
	v_ashrrev_i32_e32 v4, 31, v4
	v_mul_u32_u24_e32 v35, 20, v5
	v_xor_b32_e32 v5, s25, v4
	v_xor_b32_e32 v4, s24, v4
	v_and_b32_e32 v37, v37, v39
	v_and_b32_e32 v4, v33, v4
	;; [unrolled: 1-line block ×3, first 2 shown]
	v_mbcnt_lo_u32_b32 v33, v4, 0
	v_mbcnt_hi_u32_b32 v33, v5, v33
	v_cmp_ne_u64_e64 s[24:25], 0, v[4:5]
	v_cmp_eq_u32_e64 s[26:27], 0, v33
	s_and_b64 s[26:27], s[24:25], s[26:27]
	v_add_u32_e32 v35, v31, v35
	; wave barrier
	s_and_saveexec_b64 s[24:25], s[26:27]
	s_cbranch_execz .LBB25_31
; %bb.30:
	v_bcnt_u32_b32 v4, v4, 0
	v_bcnt_u32_b32 v4, v5, v4
	s_waitcnt lgkmcnt(0)
	v_add_u32_e32 v4, v27, v4
	ds_write_b32 v35, v4 offset:16
.LBB25_31:
	s_or_b64 exec, exec, s[24:25]
	v_lshrrev_b32_e32 v4, s68, v34
	v_and_b32_e32 v5, s74, v4
	v_mad_u32_u24 v4, v5, 20, v31
	; wave barrier
	ds_read_b32 v34, v4 offset:16
	v_and_b32_e32 v4, 1, v5
	v_add_co_u32_e64 v37, s[24:25], -1, v4
	v_addc_co_u32_e64 v41, s[24:25], 0, -1, s[24:25]
	v_cmp_ne_u32_e64 s[24:25], 0, v4
	v_xor_b32_e32 v4, s25, v41
	v_and_b32_e32 v41, exec_hi, v4
	v_lshlrev_b32_e32 v4, 30, v5
	v_xor_b32_e32 v37, s24, v37
	v_cmp_gt_i64_e64 s[24:25], 0, v[3:4]
	v_not_b32_e32 v4, v4
	v_ashrrev_i32_e32 v4, 31, v4
	v_and_b32_e32 v37, exec_lo, v37
	v_xor_b32_e32 v43, s25, v4
	v_xor_b32_e32 v4, s24, v4
	v_and_b32_e32 v37, v37, v4
	v_lshlrev_b32_e32 v4, 29, v5
	v_cmp_gt_i64_e64 s[24:25], 0, v[3:4]
	v_not_b32_e32 v4, v4
	v_ashrrev_i32_e32 v4, 31, v4
	v_and_b32_e32 v41, v41, v43
	v_xor_b32_e32 v43, s25, v4
	v_xor_b32_e32 v4, s24, v4
	v_and_b32_e32 v37, v37, v4
	v_lshlrev_b32_e32 v4, 28, v5
	v_cmp_gt_i64_e64 s[24:25], 0, v[3:4]
	v_not_b32_e32 v4, v4
	v_ashrrev_i32_e32 v4, 31, v4
	v_and_b32_e32 v41, v41, v43
	;; [unrolled: 8-line block ×5, first 2 shown]
	v_xor_b32_e32 v43, s25, v4
	v_xor_b32_e32 v4, s24, v4
	v_and_b32_e32 v37, v37, v4
	v_lshlrev_b32_e32 v4, 24, v5
	v_cmp_gt_i64_e64 s[24:25], 0, v[3:4]
	v_not_b32_e32 v3, v4
	v_ashrrev_i32_e32 v3, 31, v3
	v_xor_b32_e32 v4, s25, v3
	v_xor_b32_e32 v3, s24, v3
	v_and_b32_e32 v41, v41, v43
	v_and_b32_e32 v3, v37, v3
	v_mul_u32_u24_e32 v39, 20, v5
	v_and_b32_e32 v4, v41, v4
	v_mbcnt_lo_u32_b32 v5, v3, 0
	v_mbcnt_hi_u32_b32 v37, v4, v5
	v_cmp_ne_u64_e64 s[24:25], 0, v[3:4]
	v_cmp_eq_u32_e64 s[26:27], 0, v37
	s_and_b64 s[26:27], s[24:25], s[26:27]
	v_add_u32_e32 v39, v31, v39
	; wave barrier
	s_and_saveexec_b64 s[24:25], s[26:27]
	s_cbranch_execz .LBB25_33
; %bb.32:
	v_bcnt_u32_b32 v3, v3, 0
	v_bcnt_u32_b32 v3, v4, v3
	s_waitcnt lgkmcnt(0)
	v_add_u32_e32 v3, v34, v3
	ds_write_b32 v39, v3 offset:16
.LBB25_33:
	s_or_b64 exec, exec, s[24:25]
	v_lshrrev_b32_e32 v3, s68, v38
	v_and_b32_e32 v5, s74, v3
	v_and_b32_e32 v4, 1, v5
	v_add_co_u32_e64 v41, s[24:25], -1, v4
	v_addc_co_u32_e64 v45, s[24:25], 0, -1, s[24:25]
	v_cmp_ne_u32_e64 s[24:25], 0, v4
	v_mad_u32_u24 v3, v5, 20, v31
	v_xor_b32_e32 v4, s25, v45
	; wave barrier
	ds_read_b32 v38, v3 offset:16
	v_mov_b32_e32 v3, 0
	v_and_b32_e32 v45, exec_hi, v4
	v_lshlrev_b32_e32 v4, 30, v5
	v_xor_b32_e32 v41, s24, v41
	v_cmp_gt_i64_e64 s[24:25], 0, v[3:4]
	v_not_b32_e32 v4, v4
	v_ashrrev_i32_e32 v4, 31, v4
	v_and_b32_e32 v41, exec_lo, v41
	v_xor_b32_e32 v46, s25, v4
	v_xor_b32_e32 v4, s24, v4
	v_and_b32_e32 v41, v41, v4
	v_lshlrev_b32_e32 v4, 29, v5
	v_cmp_gt_i64_e64 s[24:25], 0, v[3:4]
	v_not_b32_e32 v4, v4
	v_ashrrev_i32_e32 v4, 31, v4
	v_and_b32_e32 v45, v45, v46
	v_xor_b32_e32 v46, s25, v4
	v_xor_b32_e32 v4, s24, v4
	v_and_b32_e32 v41, v41, v4
	v_lshlrev_b32_e32 v4, 28, v5
	v_cmp_gt_i64_e64 s[24:25], 0, v[3:4]
	v_not_b32_e32 v4, v4
	v_ashrrev_i32_e32 v4, 31, v4
	v_and_b32_e32 v45, v45, v46
	;; [unrolled: 8-line block ×5, first 2 shown]
	v_xor_b32_e32 v46, s25, v4
	v_xor_b32_e32 v4, s24, v4
	v_and_b32_e32 v41, v41, v4
	v_lshlrev_b32_e32 v4, 24, v5
	v_cmp_gt_i64_e64 s[24:25], 0, v[3:4]
	v_not_b32_e32 v4, v4
	v_ashrrev_i32_e32 v4, 31, v4
	v_mul_u32_u24_e32 v43, 20, v5
	v_xor_b32_e32 v5, s25, v4
	v_xor_b32_e32 v4, s24, v4
	v_and_b32_e32 v45, v45, v46
	v_and_b32_e32 v4, v41, v4
	;; [unrolled: 1-line block ×3, first 2 shown]
	v_mbcnt_lo_u32_b32 v41, v4, 0
	v_mbcnt_hi_u32_b32 v41, v5, v41
	v_cmp_ne_u64_e64 s[24:25], 0, v[4:5]
	v_cmp_eq_u32_e64 s[26:27], 0, v41
	s_and_b64 s[26:27], s[24:25], s[26:27]
	v_add_u32_e32 v43, v31, v43
	; wave barrier
	s_and_saveexec_b64 s[24:25], s[26:27]
	s_cbranch_execz .LBB25_35
; %bb.34:
	v_bcnt_u32_b32 v4, v4, 0
	v_bcnt_u32_b32 v4, v5, v4
	s_waitcnt lgkmcnt(0)
	v_add_u32_e32 v4, v38, v4
	ds_write_b32 v43, v4 offset:16
.LBB25_35:
	s_or_b64 exec, exec, s[24:25]
	v_lshrrev_b32_e32 v4, s68, v42
	v_and_b32_e32 v5, s74, v4
	v_mad_u32_u24 v4, v5, 20, v31
	; wave barrier
	ds_read_b32 v42, v4 offset:16
	v_and_b32_e32 v4, 1, v5
	v_add_co_u32_e64 v46, s[24:25], -1, v4
	v_addc_co_u32_e64 v47, s[24:25], 0, -1, s[24:25]
	v_cmp_ne_u32_e64 s[24:25], 0, v4
	v_xor_b32_e32 v4, s25, v47
	v_and_b32_e32 v47, exec_hi, v4
	v_lshlrev_b32_e32 v4, 30, v5
	v_xor_b32_e32 v46, s24, v46
	v_cmp_gt_i64_e64 s[24:25], 0, v[3:4]
	v_not_b32_e32 v4, v4
	v_ashrrev_i32_e32 v4, 31, v4
	v_and_b32_e32 v46, exec_lo, v46
	v_xor_b32_e32 v48, s25, v4
	v_xor_b32_e32 v4, s24, v4
	v_and_b32_e32 v46, v46, v4
	v_lshlrev_b32_e32 v4, 29, v5
	v_cmp_gt_i64_e64 s[24:25], 0, v[3:4]
	v_not_b32_e32 v4, v4
	v_ashrrev_i32_e32 v4, 31, v4
	v_and_b32_e32 v47, v47, v48
	v_xor_b32_e32 v48, s25, v4
	v_xor_b32_e32 v4, s24, v4
	v_and_b32_e32 v46, v46, v4
	v_lshlrev_b32_e32 v4, 28, v5
	v_cmp_gt_i64_e64 s[24:25], 0, v[3:4]
	v_not_b32_e32 v4, v4
	v_ashrrev_i32_e32 v4, 31, v4
	v_and_b32_e32 v47, v47, v48
	;; [unrolled: 8-line block ×5, first 2 shown]
	v_xor_b32_e32 v48, s25, v4
	v_xor_b32_e32 v4, s24, v4
	v_and_b32_e32 v46, v46, v4
	v_lshlrev_b32_e32 v4, 24, v5
	v_cmp_gt_i64_e64 s[24:25], 0, v[3:4]
	v_not_b32_e32 v3, v4
	v_ashrrev_i32_e32 v3, 31, v3
	v_xor_b32_e32 v4, s25, v3
	v_xor_b32_e32 v3, s24, v3
	v_and_b32_e32 v47, v47, v48
	v_and_b32_e32 v3, v46, v3
	v_mul_u32_u24_e32 v45, 20, v5
	v_and_b32_e32 v4, v47, v4
	v_mbcnt_lo_u32_b32 v5, v3, 0
	v_mbcnt_hi_u32_b32 v47, v4, v5
	v_cmp_ne_u64_e64 s[24:25], 0, v[3:4]
	v_cmp_eq_u32_e64 s[26:27], 0, v47
	s_and_b64 s[26:27], s[24:25], s[26:27]
	v_add_u32_e32 v45, v31, v45
	; wave barrier
	s_and_saveexec_b64 s[24:25], s[26:27]
	s_cbranch_execz .LBB25_37
; %bb.36:
	v_bcnt_u32_b32 v3, v3, 0
	v_bcnt_u32_b32 v3, v4, v3
	s_waitcnt lgkmcnt(0)
	v_add_u32_e32 v3, v42, v3
	ds_write_b32 v45, v3 offset:16
.LBB25_37:
	s_or_b64 exec, exec, s[24:25]
	v_lshrrev_b32_e32 v3, s68, v44
	v_and_b32_e32 v5, s74, v3
	v_and_b32_e32 v4, 1, v5
	v_add_co_u32_e64 v46, s[24:25], -1, v4
	v_addc_co_u32_e64 v49, s[24:25], 0, -1, s[24:25]
	v_cmp_ne_u32_e64 s[24:25], 0, v4
	v_mad_u32_u24 v3, v5, 20, v31
	v_xor_b32_e32 v4, s25, v49
	; wave barrier
	ds_read_b32 v48, v3 offset:16
	v_mov_b32_e32 v3, 0
	v_and_b32_e32 v49, exec_hi, v4
	v_lshlrev_b32_e32 v4, 30, v5
	v_xor_b32_e32 v46, s24, v46
	v_cmp_gt_i64_e64 s[24:25], 0, v[3:4]
	v_not_b32_e32 v4, v4
	v_ashrrev_i32_e32 v4, 31, v4
	v_and_b32_e32 v46, exec_lo, v46
	v_xor_b32_e32 v50, s25, v4
	v_xor_b32_e32 v4, s24, v4
	v_and_b32_e32 v46, v46, v4
	v_lshlrev_b32_e32 v4, 29, v5
	v_cmp_gt_i64_e64 s[24:25], 0, v[3:4]
	v_not_b32_e32 v4, v4
	v_ashrrev_i32_e32 v4, 31, v4
	v_and_b32_e32 v49, v49, v50
	v_xor_b32_e32 v50, s25, v4
	v_xor_b32_e32 v4, s24, v4
	v_and_b32_e32 v46, v46, v4
	v_lshlrev_b32_e32 v4, 28, v5
	v_cmp_gt_i64_e64 s[24:25], 0, v[3:4]
	v_not_b32_e32 v4, v4
	v_ashrrev_i32_e32 v4, 31, v4
	v_and_b32_e32 v49, v49, v50
	;; [unrolled: 8-line block ×5, first 2 shown]
	v_xor_b32_e32 v50, s25, v4
	v_xor_b32_e32 v4, s24, v4
	v_and_b32_e32 v46, v46, v4
	v_lshlrev_b32_e32 v4, 24, v5
	v_cmp_gt_i64_e64 s[24:25], 0, v[3:4]
	v_not_b32_e32 v4, v4
	v_ashrrev_i32_e32 v4, 31, v4
	v_mul_u32_u24_e32 v44, 20, v5
	v_xor_b32_e32 v5, s25, v4
	v_xor_b32_e32 v4, s24, v4
	v_and_b32_e32 v49, v49, v50
	v_and_b32_e32 v4, v46, v4
	;; [unrolled: 1-line block ×3, first 2 shown]
	v_mbcnt_lo_u32_b32 v46, v4, 0
	v_mbcnt_hi_u32_b32 v49, v5, v46
	v_cmp_ne_u64_e64 s[24:25], 0, v[4:5]
	v_cmp_eq_u32_e64 s[26:27], 0, v49
	s_and_b64 s[26:27], s[24:25], s[26:27]
	v_add_u32_e32 v44, v31, v44
	; wave barrier
	s_and_saveexec_b64 s[24:25], s[26:27]
	s_cbranch_execz .LBB25_39
; %bb.38:
	v_bcnt_u32_b32 v4, v4, 0
	v_bcnt_u32_b32 v4, v5, v4
	s_waitcnt lgkmcnt(0)
	v_add_u32_e32 v4, v48, v4
	ds_write_b32 v44, v4 offset:16
.LBB25_39:
	s_or_b64 exec, exec, s[24:25]
	v_lshrrev_b32_e32 v4, s68, v40
	v_and_b32_e32 v5, s74, v4
	v_mad_u32_u24 v4, v5, 20, v31
	; wave barrier
	ds_read_b32 v50, v4 offset:16
	v_and_b32_e32 v4, 1, v5
	v_add_co_u32_e64 v46, s[24:25], -1, v4
	v_addc_co_u32_e64 v51, s[24:25], 0, -1, s[24:25]
	v_cmp_ne_u32_e64 s[24:25], 0, v4
	v_xor_b32_e32 v4, s25, v51
	v_and_b32_e32 v51, exec_hi, v4
	v_lshlrev_b32_e32 v4, 30, v5
	v_xor_b32_e32 v46, s24, v46
	v_cmp_gt_i64_e64 s[24:25], 0, v[3:4]
	v_not_b32_e32 v4, v4
	v_ashrrev_i32_e32 v4, 31, v4
	v_and_b32_e32 v46, exec_lo, v46
	v_xor_b32_e32 v52, s25, v4
	v_xor_b32_e32 v4, s24, v4
	v_and_b32_e32 v46, v46, v4
	v_lshlrev_b32_e32 v4, 29, v5
	v_cmp_gt_i64_e64 s[24:25], 0, v[3:4]
	v_not_b32_e32 v4, v4
	v_ashrrev_i32_e32 v4, 31, v4
	v_and_b32_e32 v51, v51, v52
	v_xor_b32_e32 v52, s25, v4
	v_xor_b32_e32 v4, s24, v4
	v_and_b32_e32 v46, v46, v4
	v_lshlrev_b32_e32 v4, 28, v5
	v_cmp_gt_i64_e64 s[24:25], 0, v[3:4]
	v_not_b32_e32 v4, v4
	v_ashrrev_i32_e32 v4, 31, v4
	v_and_b32_e32 v51, v51, v52
	;; [unrolled: 8-line block ×5, first 2 shown]
	v_xor_b32_e32 v52, s25, v4
	v_xor_b32_e32 v4, s24, v4
	v_and_b32_e32 v46, v46, v4
	v_lshlrev_b32_e32 v4, 24, v5
	v_cmp_gt_i64_e64 s[24:25], 0, v[3:4]
	v_not_b32_e32 v3, v4
	v_ashrrev_i32_e32 v3, 31, v3
	v_xor_b32_e32 v4, s25, v3
	v_xor_b32_e32 v3, s24, v3
	v_and_b32_e32 v51, v51, v52
	v_and_b32_e32 v3, v46, v3
	v_mul_u32_u24_e32 v40, 20, v5
	v_and_b32_e32 v4, v51, v4
	v_mbcnt_lo_u32_b32 v5, v3, 0
	v_mbcnt_hi_u32_b32 v51, v4, v5
	v_cmp_ne_u64_e64 s[24:25], 0, v[3:4]
	v_cmp_eq_u32_e64 s[26:27], 0, v51
	s_and_b64 s[26:27], s[24:25], s[26:27]
	v_add_u32_e32 v40, v31, v40
	; wave barrier
	s_and_saveexec_b64 s[24:25], s[26:27]
	s_cbranch_execz .LBB25_41
; %bb.40:
	v_bcnt_u32_b32 v3, v3, 0
	v_bcnt_u32_b32 v3, v4, v3
	s_waitcnt lgkmcnt(0)
	v_add_u32_e32 v3, v50, v3
	ds_write_b32 v40, v3 offset:16
.LBB25_41:
	s_or_b64 exec, exec, s[24:25]
	v_lshrrev_b32_e32 v3, s68, v36
	v_and_b32_e32 v5, s74, v3
	v_and_b32_e32 v4, 1, v5
	v_add_co_u32_e64 v52, s[24:25], -1, v4
	v_addc_co_u32_e64 v53, s[24:25], 0, -1, s[24:25]
	v_cmp_ne_u32_e64 s[24:25], 0, v4
	v_mad_u32_u24 v3, v5, 20, v31
	v_xor_b32_e32 v4, s25, v53
	; wave barrier
	ds_read_b32 v36, v3 offset:16
	v_mov_b32_e32 v3, 0
	v_and_b32_e32 v53, exec_hi, v4
	v_lshlrev_b32_e32 v4, 30, v5
	v_xor_b32_e32 v52, s24, v52
	v_cmp_gt_i64_e64 s[24:25], 0, v[3:4]
	v_not_b32_e32 v4, v4
	v_ashrrev_i32_e32 v4, 31, v4
	v_and_b32_e32 v52, exec_lo, v52
	v_xor_b32_e32 v54, s25, v4
	v_xor_b32_e32 v4, s24, v4
	v_and_b32_e32 v52, v52, v4
	v_lshlrev_b32_e32 v4, 29, v5
	v_cmp_gt_i64_e64 s[24:25], 0, v[3:4]
	v_not_b32_e32 v4, v4
	v_ashrrev_i32_e32 v4, 31, v4
	v_and_b32_e32 v53, v53, v54
	v_xor_b32_e32 v54, s25, v4
	v_xor_b32_e32 v4, s24, v4
	v_and_b32_e32 v52, v52, v4
	v_lshlrev_b32_e32 v4, 28, v5
	v_cmp_gt_i64_e64 s[24:25], 0, v[3:4]
	v_not_b32_e32 v4, v4
	v_ashrrev_i32_e32 v4, 31, v4
	v_and_b32_e32 v53, v53, v54
	v_xor_b32_e32 v54, s25, v4
	v_xor_b32_e32 v4, s24, v4
	v_and_b32_e32 v52, v52, v4
	v_lshlrev_b32_e32 v4, 27, v5
	v_cmp_gt_i64_e64 s[24:25], 0, v[3:4]
	v_not_b32_e32 v4, v4
	v_ashrrev_i32_e32 v4, 31, v4
	v_and_b32_e32 v53, v53, v54
	v_xor_b32_e32 v54, s25, v4
	v_xor_b32_e32 v4, s24, v4
	v_and_b32_e32 v52, v52, v4
	v_lshlrev_b32_e32 v4, 26, v5
	v_cmp_gt_i64_e64 s[24:25], 0, v[3:4]
	v_not_b32_e32 v4, v4
	v_ashrrev_i32_e32 v4, 31, v4
	v_and_b32_e32 v53, v53, v54
	v_xor_b32_e32 v54, s25, v4
	v_xor_b32_e32 v4, s24, v4
	v_and_b32_e32 v52, v52, v4
	v_lshlrev_b32_e32 v4, 25, v5
	v_cmp_gt_i64_e64 s[24:25], 0, v[3:4]
	v_not_b32_e32 v4, v4
	v_ashrrev_i32_e32 v4, 31, v4
	v_and_b32_e32 v53, v53, v54
	v_xor_b32_e32 v54, s25, v4
	v_xor_b32_e32 v4, s24, v4
	v_and_b32_e32 v52, v52, v4
	v_lshlrev_b32_e32 v4, 24, v5
	v_cmp_gt_i64_e64 s[24:25], 0, v[3:4]
	v_not_b32_e32 v4, v4
	v_ashrrev_i32_e32 v4, 31, v4
	v_mul_u32_u24_e32 v46, 20, v5
	v_xor_b32_e32 v5, s25, v4
	v_xor_b32_e32 v4, s24, v4
	v_and_b32_e32 v53, v53, v54
	v_and_b32_e32 v4, v52, v4
	;; [unrolled: 1-line block ×3, first 2 shown]
	v_mbcnt_lo_u32_b32 v52, v4, 0
	v_mbcnt_hi_u32_b32 v52, v5, v52
	v_cmp_ne_u64_e64 s[24:25], 0, v[4:5]
	v_cmp_eq_u32_e64 s[26:27], 0, v52
	s_and_b64 s[26:27], s[24:25], s[26:27]
	v_add_u32_e32 v46, v31, v46
	; wave barrier
	s_and_saveexec_b64 s[24:25], s[26:27]
	s_cbranch_execz .LBB25_43
; %bb.42:
	v_bcnt_u32_b32 v4, v4, 0
	v_bcnt_u32_b32 v4, v5, v4
	s_waitcnt lgkmcnt(0)
	v_add_u32_e32 v4, v36, v4
	ds_write_b32 v46, v4 offset:16
.LBB25_43:
	s_or_b64 exec, exec, s[24:25]
	v_lshrrev_b32_e32 v4, s68, v32
	v_and_b32_e32 v5, s74, v4
	v_mad_u32_u24 v4, v5, 20, v31
	; wave barrier
	ds_read_b32 v32, v4 offset:16
	v_and_b32_e32 v4, 1, v5
	v_add_co_u32_e64 v53, s[24:25], -1, v4
	v_addc_co_u32_e64 v55, s[24:25], 0, -1, s[24:25]
	v_cmp_ne_u32_e64 s[24:25], 0, v4
	v_xor_b32_e32 v4, s25, v55
	v_and_b32_e32 v55, exec_hi, v4
	v_lshlrev_b32_e32 v4, 30, v5
	v_xor_b32_e32 v53, s24, v53
	v_cmp_gt_i64_e64 s[24:25], 0, v[3:4]
	v_not_b32_e32 v4, v4
	v_ashrrev_i32_e32 v4, 31, v4
	v_and_b32_e32 v53, exec_lo, v53
	v_xor_b32_e32 v56, s25, v4
	v_xor_b32_e32 v4, s24, v4
	v_and_b32_e32 v53, v53, v4
	v_lshlrev_b32_e32 v4, 29, v5
	v_cmp_gt_i64_e64 s[24:25], 0, v[3:4]
	v_not_b32_e32 v4, v4
	v_ashrrev_i32_e32 v4, 31, v4
	v_and_b32_e32 v55, v55, v56
	v_xor_b32_e32 v56, s25, v4
	v_xor_b32_e32 v4, s24, v4
	v_and_b32_e32 v53, v53, v4
	v_lshlrev_b32_e32 v4, 28, v5
	v_cmp_gt_i64_e64 s[24:25], 0, v[3:4]
	v_not_b32_e32 v4, v4
	v_ashrrev_i32_e32 v4, 31, v4
	v_and_b32_e32 v55, v55, v56
	;; [unrolled: 8-line block ×5, first 2 shown]
	v_xor_b32_e32 v56, s25, v4
	v_xor_b32_e32 v4, s24, v4
	v_and_b32_e32 v53, v53, v4
	v_lshlrev_b32_e32 v4, 24, v5
	v_cmp_gt_i64_e64 s[24:25], 0, v[3:4]
	v_not_b32_e32 v3, v4
	v_ashrrev_i32_e32 v3, 31, v3
	v_xor_b32_e32 v4, s25, v3
	v_xor_b32_e32 v3, s24, v3
	v_and_b32_e32 v55, v55, v56
	v_and_b32_e32 v3, v53, v3
	v_mul_u32_u24_e32 v54, 20, v5
	v_and_b32_e32 v4, v55, v4
	v_mbcnt_lo_u32_b32 v5, v3, 0
	v_mbcnt_hi_u32_b32 v53, v4, v5
	v_cmp_ne_u64_e64 s[24:25], 0, v[3:4]
	v_cmp_eq_u32_e64 s[26:27], 0, v53
	s_and_b64 s[26:27], s[24:25], s[26:27]
	v_add_u32_e32 v54, v31, v54
	; wave barrier
	s_and_saveexec_b64 s[24:25], s[26:27]
	s_cbranch_execz .LBB25_45
; %bb.44:
	v_bcnt_u32_b32 v3, v3, 0
	v_bcnt_u32_b32 v3, v4, v3
	s_waitcnt lgkmcnt(0)
	v_add_u32_e32 v3, v32, v3
	ds_write_b32 v54, v3 offset:16
.LBB25_45:
	s_or_b64 exec, exec, s[24:25]
	v_lshrrev_b32_e32 v3, s68, v28
	v_and_b32_e32 v5, s74, v3
	v_and_b32_e32 v4, 1, v5
	v_add_co_u32_e64 v55, s[24:25], -1, v4
	v_addc_co_u32_e64 v57, s[24:25], 0, -1, s[24:25]
	v_cmp_ne_u32_e64 s[24:25], 0, v4
	v_mad_u32_u24 v3, v5, 20, v31
	v_xor_b32_e32 v4, s25, v57
	; wave barrier
	ds_read_b32 v28, v3 offset:16
	v_mov_b32_e32 v3, 0
	v_and_b32_e32 v57, exec_hi, v4
	v_lshlrev_b32_e32 v4, 30, v5
	v_xor_b32_e32 v55, s24, v55
	v_cmp_gt_i64_e64 s[24:25], 0, v[3:4]
	v_not_b32_e32 v4, v4
	v_ashrrev_i32_e32 v4, 31, v4
	v_and_b32_e32 v55, exec_lo, v55
	v_xor_b32_e32 v58, s25, v4
	v_xor_b32_e32 v4, s24, v4
	v_and_b32_e32 v55, v55, v4
	v_lshlrev_b32_e32 v4, 29, v5
	v_cmp_gt_i64_e64 s[24:25], 0, v[3:4]
	v_not_b32_e32 v4, v4
	v_ashrrev_i32_e32 v4, 31, v4
	v_and_b32_e32 v57, v57, v58
	v_xor_b32_e32 v58, s25, v4
	v_xor_b32_e32 v4, s24, v4
	v_and_b32_e32 v55, v55, v4
	v_lshlrev_b32_e32 v4, 28, v5
	v_cmp_gt_i64_e64 s[24:25], 0, v[3:4]
	v_not_b32_e32 v4, v4
	v_ashrrev_i32_e32 v4, 31, v4
	v_and_b32_e32 v57, v57, v58
	;; [unrolled: 8-line block ×5, first 2 shown]
	v_xor_b32_e32 v58, s25, v4
	v_xor_b32_e32 v4, s24, v4
	v_and_b32_e32 v55, v55, v4
	v_lshlrev_b32_e32 v4, 24, v5
	v_cmp_gt_i64_e64 s[24:25], 0, v[3:4]
	v_not_b32_e32 v4, v4
	v_ashrrev_i32_e32 v4, 31, v4
	v_mul_u32_u24_e32 v56, 20, v5
	v_xor_b32_e32 v5, s25, v4
	v_xor_b32_e32 v4, s24, v4
	v_and_b32_e32 v57, v57, v58
	v_and_b32_e32 v4, v55, v4
	;; [unrolled: 1-line block ×3, first 2 shown]
	v_mbcnt_lo_u32_b32 v55, v4, 0
	v_mbcnt_hi_u32_b32 v55, v5, v55
	v_cmp_ne_u64_e64 s[24:25], 0, v[4:5]
	v_cmp_eq_u32_e64 s[26:27], 0, v55
	s_and_b64 s[26:27], s[24:25], s[26:27]
	v_add_u32_e32 v57, v31, v56
	; wave barrier
	s_and_saveexec_b64 s[24:25], s[26:27]
	s_cbranch_execz .LBB25_47
; %bb.46:
	v_bcnt_u32_b32 v4, v4, 0
	v_bcnt_u32_b32 v4, v5, v4
	s_waitcnt lgkmcnt(0)
	v_add_u32_e32 v4, v28, v4
	ds_write_b32 v57, v4 offset:16
.LBB25_47:
	s_or_b64 exec, exec, s[24:25]
	v_lshrrev_b32_e32 v4, s68, v6
	v_and_b32_e32 v5, s74, v4
	v_mad_u32_u24 v4, v5, 20, v31
	; wave barrier
	ds_read_b32 v56, v4 offset:16
	v_and_b32_e32 v4, 1, v5
	v_add_co_u32_e64 v58, s[24:25], -1, v4
	v_addc_co_u32_e64 v59, s[24:25], 0, -1, s[24:25]
	v_cmp_ne_u32_e64 s[24:25], 0, v4
	v_xor_b32_e32 v4, s25, v59
	v_and_b32_e32 v59, exec_hi, v4
	v_lshlrev_b32_e32 v4, 30, v5
	v_xor_b32_e32 v58, s24, v58
	v_cmp_gt_i64_e64 s[24:25], 0, v[3:4]
	v_not_b32_e32 v4, v4
	v_ashrrev_i32_e32 v4, 31, v4
	v_and_b32_e32 v58, exec_lo, v58
	v_xor_b32_e32 v60, s25, v4
	v_xor_b32_e32 v4, s24, v4
	v_and_b32_e32 v58, v58, v4
	v_lshlrev_b32_e32 v4, 29, v5
	v_cmp_gt_i64_e64 s[24:25], 0, v[3:4]
	v_not_b32_e32 v4, v4
	v_ashrrev_i32_e32 v4, 31, v4
	v_and_b32_e32 v59, v59, v60
	v_xor_b32_e32 v60, s25, v4
	v_xor_b32_e32 v4, s24, v4
	v_and_b32_e32 v58, v58, v4
	v_lshlrev_b32_e32 v4, 28, v5
	v_cmp_gt_i64_e64 s[24:25], 0, v[3:4]
	v_not_b32_e32 v4, v4
	v_ashrrev_i32_e32 v4, 31, v4
	v_and_b32_e32 v59, v59, v60
	;; [unrolled: 8-line block ×5, first 2 shown]
	v_xor_b32_e32 v60, s25, v4
	v_xor_b32_e32 v4, s24, v4
	v_and_b32_e32 v58, v58, v4
	v_lshlrev_b32_e32 v4, 24, v5
	v_cmp_gt_i64_e64 s[24:25], 0, v[3:4]
	v_not_b32_e32 v3, v4
	v_ashrrev_i32_e32 v3, 31, v3
	v_xor_b32_e32 v4, s25, v3
	v_xor_b32_e32 v3, s24, v3
	v_and_b32_e32 v59, v59, v60
	v_and_b32_e32 v3, v58, v3
	v_mul_u32_u24_e32 v6, 20, v5
	v_and_b32_e32 v4, v59, v4
	v_mbcnt_lo_u32_b32 v5, v3, 0
	v_mbcnt_hi_u32_b32 v58, v4, v5
	v_cmp_ne_u64_e64 s[24:25], 0, v[3:4]
	v_cmp_eq_u32_e64 s[26:27], 0, v58
	s_and_b64 s[26:27], s[24:25], s[26:27]
	v_add_u32_e32 v31, v31, v6
	; wave barrier
	s_and_saveexec_b64 s[24:25], s[26:27]
	s_cbranch_execz .LBB25_49
; %bb.48:
	v_bcnt_u32_b32 v3, v3, 0
	v_bcnt_u32_b32 v3, v4, v3
	s_waitcnt lgkmcnt(0)
	v_add_u32_e32 v3, v56, v3
	ds_write_b32 v31, v3 offset:16
.LBB25_49:
	s_or_b64 exec, exec, s[24:25]
	; wave barrier
	s_waitcnt lgkmcnt(0)
	s_barrier
	ds_read2_b32 v[5:6], v22 offset0:4 offset1:5
	ds_read2_b32 v[3:4], v22 offset0:6 offset1:7
	ds_read_b32 v59, v22 offset:32
	v_min_u32_e32 v17, 0xc0, v17
	v_or_b32_e32 v17, 63, v17
	s_waitcnt lgkmcnt(1)
	v_add3_u32 v60, v6, v5, v3
	s_waitcnt lgkmcnt(0)
	v_add3_u32 v59, v60, v4, v59
	v_and_b32_e32 v60, 15, v9
	v_cmp_ne_u32_e64 s[24:25], 0, v60
	v_mov_b32_dpp v61, v59 row_shr:1 row_mask:0xf bank_mask:0xf
	v_cndmask_b32_e64 v61, 0, v61, s[24:25]
	v_add_u32_e32 v59, v61, v59
	v_cmp_lt_u32_e64 s[24:25], 1, v60
	s_nop 0
	v_mov_b32_dpp v61, v59 row_shr:2 row_mask:0xf bank_mask:0xf
	v_cndmask_b32_e64 v61, 0, v61, s[24:25]
	v_add_u32_e32 v59, v59, v61
	v_cmp_lt_u32_e64 s[24:25], 3, v60
	s_nop 0
	;; [unrolled: 5-line block ×3, first 2 shown]
	v_mov_b32_dpp v61, v59 row_shr:8 row_mask:0xf bank_mask:0xf
	v_cndmask_b32_e64 v60, 0, v61, s[24:25]
	v_add_u32_e32 v59, v59, v60
	v_bfe_i32 v61, v9, 4, 1
	v_cmp_lt_u32_e64 s[24:25], 31, v9
	v_mov_b32_dpp v60, v59 row_bcast:15 row_mask:0xf bank_mask:0xf
	v_and_b32_e32 v60, v61, v60
	v_add_u32_e32 v59, v59, v60
	s_nop 1
	v_mov_b32_dpp v60, v59 row_bcast:31 row_mask:0xf bank_mask:0xf
	v_cndmask_b32_e64 v60, 0, v60, s[24:25]
	v_add_u32_e32 v59, v59, v60
	v_lshrrev_b32_e32 v60, 6, v0
	v_cmp_eq_u32_e64 s[24:25], v0, v17
	s_and_saveexec_b64 s[26:27], s[24:25]
; %bb.50:
	v_lshlrev_b32_e32 v17, 2, v60
	ds_write_b32 v17, v59
; %bb.51:
	s_or_b64 exec, exec, s[26:27]
	v_cmp_gt_u32_e64 s[24:25], 4, v0
	s_waitcnt lgkmcnt(0)
	s_barrier
	s_and_saveexec_b64 s[26:27], s[24:25]
	s_cbranch_execz .LBB25_53
; %bb.52:
	v_lshlrev_b32_e32 v17, 2, v0
	ds_read_b32 v61, v17
	v_and_b32_e32 v62, 3, v9
	v_cmp_ne_u32_e64 s[24:25], 0, v62
	s_waitcnt lgkmcnt(0)
	v_mov_b32_dpp v63, v61 row_shr:1 row_mask:0xf bank_mask:0xf
	v_cndmask_b32_e64 v63, 0, v63, s[24:25]
	v_add_u32_e32 v61, v63, v61
	v_cmp_lt_u32_e64 s[24:25], 1, v62
	s_nop 0
	v_mov_b32_dpp v63, v61 row_shr:2 row_mask:0xf bank_mask:0xf
	v_cndmask_b32_e64 v62, 0, v63, s[24:25]
	v_add_u32_e32 v61, v61, v62
	ds_write_b32 v17, v61
.LBB25_53:
	s_or_b64 exec, exec, s[26:27]
	v_cmp_lt_u32_e64 s[24:25], 63, v0
	v_mov_b32_e32 v17, 0
	s_waitcnt lgkmcnt(0)
	s_barrier
	s_and_saveexec_b64 s[26:27], s[24:25]
; %bb.54:
	v_lshl_add_u32 v17, v60, 2, -4
	ds_read_b32 v17, v17
; %bb.55:
	s_or_b64 exec, exec, s[26:27]
	v_add_u32_e32 v60, -1, v9
	v_and_b32_e32 v61, 64, v9
	v_cmp_lt_i32_e64 s[24:25], v60, v61
	v_cndmask_b32_e64 v60, v60, v9, s[24:25]
	s_waitcnt lgkmcnt(0)
	v_add_u32_e32 v59, v17, v59
	v_lshlrev_b32_e32 v60, 2, v60
	ds_bpermute_b32 v59, v60, v59
	v_cmp_eq_u32_e64 s[24:25], 0, v9
	s_waitcnt lgkmcnt(0)
	v_cndmask_b32_e64 v17, v59, v17, s[24:25]
	v_cmp_ne_u32_e64 s[24:25], 0, v0
	v_cndmask_b32_e64 v17, 0, v17, s[24:25]
	v_add_u32_e32 v5, v17, v5
	v_add_u32_e32 v6, v5, v6
	;; [unrolled: 1-line block ×4, first 2 shown]
	ds_write2_b32 v22, v17, v5 offset0:4 offset1:5
	ds_write2_b32 v22, v6, v3 offset0:6 offset1:7
	ds_write_b32 v22, v4 offset:32
	s_waitcnt lgkmcnt(0)
	s_barrier
	ds_read_b32 v4, v25 offset:16
	ds_read_b32 v5, v30 offset:16
	;; [unrolled: 1-line block ×13, first 2 shown]
	v_add_u32_e32 v22, 1, v0
	s_movk_i32 s24, 0x100
	v_cmp_ne_u32_e64 s[24:25], s24, v22
	v_mov_b32_e32 v3, 0xc00
	s_and_saveexec_b64 s[26:27], s[24:25]
; %bb.56:
	v_mul_u32_u24_e32 v3, 20, v22
	ds_read_b32 v3, v3 offset:16
; %bb.57:
	s_or_b64 exec, exec, s[26:27]
	s_waitcnt lgkmcnt(12)
	v_add_u32_e32 v46, v4, v23
	s_waitcnt lgkmcnt(11)
	v_add3_u32 v45, v26, v24, v5
	v_lshlrev_b32_e32 v4, 1, v46
	s_waitcnt lgkmcnt(10)
	v_add3_u32 v44, v33, v27, v6
	s_waitcnt lgkmcnt(0)
	s_barrier
	ds_write_b16 v4, v8 offset:2048
	v_lshlrev_b32_e32 v4, 1, v45
	v_add3_u32 v43, v37, v34, v17
	ds_write_b16 v4, v7 offset:2048
	v_lshlrev_b32_e32 v4, 1, v44
	v_add3_u32 v40, v41, v38, v25
	;; [unrolled: 3-line block ×9, first 2 shown]
	ds_write_b16 v4, v18 offset:2048
	v_lshlrev_b32_e32 v4, 1, v34
	ds_write_b16 v4, v21 offset:2048
	v_lshlrev_b32_e32 v4, 1, v33
	ds_write_b16 v4, v20 offset:2048
	v_sub_u32_e32 v31, v3, v30
	v_lshl_or_b32 v3, s6, 8, v0
	v_mov_b32_e32 v4, 0
	v_lshlrev_b64 v[5:6], 2, v[3:4]
	v_mov_b32_e32 v11, s73
	v_add_co_u32_e64 v5, s[24:25], s72, v5
	v_addc_co_u32_e64 v6, s[24:25], v11, v6, s[24:25]
	v_or_b32_e32 v3, 2.0, v31
	s_mov_b64 s[26:27], 0
	s_brev_b32 s34, -4
	s_mov_b32 s35, s7
	v_mov_b32_e32 v12, 0
	s_waitcnt lgkmcnt(0)
	s_barrier
	global_store_dword v[5:6], v3, off
                                        ; implicit-def: $sgpr24_sgpr25
	s_branch .LBB25_60
.LBB25_58:                              ;   in Loop: Header=BB25_60 Depth=1
	s_or_b64 exec, exec, s[30:31]
.LBB25_59:                              ;   in Loop: Header=BB25_60 Depth=1
	s_or_b64 exec, exec, s[28:29]
	v_and_b32_e32 v7, 0x3fffffff, v3
	v_add_u32_e32 v12, v7, v12
	v_cmp_gt_i32_e64 s[24:25], -2.0, v3
	s_and_b64 s[28:29], exec, s[24:25]
	s_or_b64 s[26:27], s[28:29], s[26:27]
	s_andn2_b64 exec, exec, s[26:27]
	s_cbranch_execz .LBB25_65
.LBB25_60:                              ; =>This Loop Header: Depth=1
                                        ;     Child Loop BB25_63 Depth 2
	s_or_b64 s[24:25], s[24:25], exec
	s_cmp_eq_u32 s35, 0
	s_cbranch_scc1 .LBB25_64
; %bb.61:                               ;   in Loop: Header=BB25_60 Depth=1
	s_add_i32 s35, s35, -1
	v_lshl_or_b32 v3, s35, 8, v0
	v_lshlrev_b64 v[7:8], 2, v[3:4]
	v_add_co_u32_e64 v7, s[24:25], s72, v7
	v_addc_co_u32_e64 v8, s[24:25], v11, v8, s[24:25]
	global_load_dword v3, v[7:8], off glc
	s_waitcnt vmcnt(0)
	v_cmp_gt_u32_e64 s[24:25], 2.0, v3
	s_and_saveexec_b64 s[28:29], s[24:25]
	s_cbranch_execz .LBB25_59
; %bb.62:                               ;   in Loop: Header=BB25_60 Depth=1
	s_mov_b64 s[30:31], 0
.LBB25_63:                              ;   Parent Loop BB25_60 Depth=1
                                        ; =>  This Inner Loop Header: Depth=2
	global_load_dword v3, v[7:8], off glc
	s_waitcnt vmcnt(0)
	v_cmp_lt_u32_e64 s[24:25], s34, v3
	s_or_b64 s[30:31], s[24:25], s[30:31]
	s_andn2_b64 exec, exec, s[30:31]
	s_cbranch_execnz .LBB25_63
	s_branch .LBB25_58
.LBB25_64:                              ;   in Loop: Header=BB25_60 Depth=1
                                        ; implicit-def: $sgpr35
	s_and_b64 s[28:29], exec, s[24:25]
	s_or_b64 s[26:27], s[28:29], s[26:27]
	s_andn2_b64 exec, exec, s[26:27]
	s_cbranch_execnz .LBB25_60
.LBB25_65:
	s_or_b64 exec, exec, s[26:27]
	v_add_u32_e32 v3, v12, v31
	v_or_b32_e32 v3, 0x80000000, v3
	v_lshlrev_b32_e32 v32, 3, v0
	global_store_dword v[5:6], v3, off
	global_load_dwordx2 v[3:4], v32, s[64:65]
	v_sub_co_u32_e64 v5, s[24:25], v12, v30
	v_subb_co_u32_e64 v6, s[24:25], 0, 0, s[24:25]
	s_waitcnt vmcnt(0)
	v_add_co_u32_e64 v3, s[24:25], v5, v3
	v_addc_co_u32_e64 v4, s[24:25], v6, v4, s[24:25]
	v_cmp_gt_u32_e64 s[24:25], s70, v0
	ds_write_b64 v32, v[3:4]
	s_waitcnt lgkmcnt(0)
	s_barrier
	s_and_saveexec_b64 s[28:29], s[24:25]
	s_cbranch_execz .LBB25_67
; %bb.66:
	v_mad_i32_i24 v3, v0, -6, v32
	ds_read_u16 v5, v3 offset:2048
	v_mov_b32_e32 v6, s59
	v_lshlrev_b32_e32 v7, 1, v0
	s_waitcnt lgkmcnt(0)
	v_lshrrev_b32_sdwa v3, s68, v5 dst_sel:DWORD dst_unused:UNUSED_PAD src0_sel:DWORD src1_sel:WORD_0
	v_and_b32_e32 v3, s74, v3
	v_lshlrev_b32_e32 v3, 3, v3
	ds_read_b64 v[3:4], v3
	s_waitcnt lgkmcnt(0)
	v_lshlrev_b64 v[3:4], 1, v[3:4]
	v_add_co_u32_e64 v3, s[26:27], s58, v3
	v_addc_co_u32_e64 v4, s[26:27], v6, v4, s[26:27]
	v_add_co_u32_e64 v3, s[26:27], v3, v7
	v_addc_co_u32_e64 v4, s[26:27], 0, v4, s[26:27]
	global_store_short v[3:4], v5, off
.LBB25_67:
	s_or_b64 exec, exec, s[28:29]
	v_or_b32_e32 v3, 0x100, v0
	v_cmp_gt_u32_e64 s[26:27], s70, v3
	s_and_saveexec_b64 s[30:31], s[26:27]
	s_cbranch_execz .LBB25_69
; %bb.68:
	v_mad_i32_i24 v3, v0, -6, v32
	ds_read_u16 v5, v3 offset:2560
	v_mov_b32_e32 v6, s59
	v_lshlrev_b32_e32 v7, 1, v0
	s_waitcnt lgkmcnt(0)
	v_lshrrev_b32_sdwa v3, s68, v5 dst_sel:DWORD dst_unused:UNUSED_PAD src0_sel:DWORD src1_sel:WORD_0
	v_and_b32_e32 v3, s74, v3
	v_lshlrev_b32_e32 v3, 3, v3
	ds_read_b64 v[3:4], v3
	s_waitcnt lgkmcnt(0)
	v_lshlrev_b64 v[3:4], 1, v[3:4]
	v_add_co_u32_e64 v3, s[28:29], s58, v3
	v_addc_co_u32_e64 v4, s[28:29], v6, v4, s[28:29]
	v_add_co_u32_e64 v3, s[28:29], v3, v7
	v_addc_co_u32_e64 v4, s[28:29], 0, v4, s[28:29]
	global_store_short v[3:4], v5, off offset:512
.LBB25_69:
	s_or_b64 exec, exec, s[30:31]
	v_or_b32_e32 v41, 0x200, v0
	v_cmp_gt_u32_e64 s[28:29], s70, v41
	s_and_saveexec_b64 s[34:35], s[28:29]
	s_cbranch_execz .LBB25_71
; %bb.70:
	v_mad_i32_i24 v3, v0, -6, v32
	ds_read_u16 v5, v3 offset:3072
	v_mov_b32_e32 v6, s59
	v_lshlrev_b32_e32 v7, 1, v0
	s_waitcnt lgkmcnt(0)
	v_lshrrev_b32_sdwa v3, s68, v5 dst_sel:DWORD dst_unused:UNUSED_PAD src0_sel:DWORD src1_sel:WORD_0
	v_and_b32_e32 v3, s74, v3
	v_lshlrev_b32_e32 v3, 3, v3
	ds_read_b64 v[3:4], v3
	s_waitcnt lgkmcnt(0)
	v_lshlrev_b64 v[3:4], 1, v[3:4]
	v_add_co_u32_e64 v3, s[30:31], s58, v3
	v_addc_co_u32_e64 v4, s[30:31], v6, v4, s[30:31]
	v_add_co_u32_e64 v3, s[30:31], v3, v7
	v_addc_co_u32_e64 v4, s[30:31], 0, v4, s[30:31]
	global_store_short v[3:4], v5, off offset:1024
.LBB25_71:
	;; [unrolled: 23-line block ×6, first 2 shown]
	s_or_b64 exec, exec, s[42:43]
	v_or_b32_e32 v50, 0x700, v0
	v_cmp_gt_u32_e64 s[40:41], s70, v50
	s_and_saveexec_b64 s[44:45], s[40:41]
	s_cbranch_execz .LBB25_81
; %bb.80:
	v_lshlrev_b32_e32 v5, 1, v0
	ds_read_u16 v6, v5 offset:5632
	v_mov_b32_e32 v7, s59
	s_waitcnt lgkmcnt(0)
	v_lshrrev_b32_sdwa v3, s68, v6 dst_sel:DWORD dst_unused:UNUSED_PAD src0_sel:DWORD src1_sel:WORD_0
	v_and_b32_e32 v3, s74, v3
	v_lshlrev_b32_e32 v3, 3, v3
	ds_read_b64 v[3:4], v3
	s_waitcnt lgkmcnt(0)
	v_lshlrev_b64 v[3:4], 1, v[3:4]
	v_add_co_u32_e64 v3, s[42:43], s58, v3
	v_addc_co_u32_e64 v4, s[42:43], v7, v4, s[42:43]
	v_add_co_u32_e64 v3, s[42:43], v3, v5
	v_addc_co_u32_e64 v4, s[42:43], 0, v4, s[42:43]
	global_store_short v[3:4], v6, off offset:3584
.LBB25_81:
	s_or_b64 exec, exec, s[44:45]
	v_or_b32_e32 v51, 0x800, v0
	v_cmp_gt_u32_e64 s[42:43], s70, v51
	s_and_saveexec_b64 s[46:47], s[42:43]
	s_cbranch_execz .LBB25_83
; %bb.82:
	v_lshlrev_b32_e32 v3, 1, v0
	ds_read_u16 v5, v3 offset:6144
	v_mov_b32_e32 v6, s59
	v_lshlrev_b32_e32 v7, 1, v51
	s_waitcnt lgkmcnt(0)
	v_lshrrev_b32_sdwa v3, s68, v5 dst_sel:DWORD dst_unused:UNUSED_PAD src0_sel:DWORD src1_sel:WORD_0
	v_and_b32_e32 v3, s74, v3
	v_lshlrev_b32_e32 v3, 3, v3
	ds_read_b64 v[3:4], v3
	s_waitcnt lgkmcnt(0)
	v_lshlrev_b64 v[3:4], 1, v[3:4]
	v_add_co_u32_e64 v3, s[44:45], s58, v3
	v_addc_co_u32_e64 v4, s[44:45], v6, v4, s[44:45]
	v_add_co_u32_e64 v3, s[44:45], v3, v7
	v_addc_co_u32_e64 v4, s[44:45], 0, v4, s[44:45]
	global_store_short v[3:4], v5, off
.LBB25_83:
	s_or_b64 exec, exec, s[46:47]
	v_or_b32_e32 v52, 0x900, v0
	v_cmp_gt_u32_e64 s[44:45], s70, v52
	s_and_saveexec_b64 s[48:49], s[44:45]
	s_cbranch_execz .LBB25_85
; %bb.84:
	v_lshlrev_b32_e32 v3, 1, v0
	ds_read_u16 v5, v3 offset:6656
	v_mov_b32_e32 v6, s59
	v_lshlrev_b32_e32 v7, 1, v52
	s_waitcnt lgkmcnt(0)
	v_lshrrev_b32_sdwa v3, s68, v5 dst_sel:DWORD dst_unused:UNUSED_PAD src0_sel:DWORD src1_sel:WORD_0
	v_and_b32_e32 v3, s74, v3
	v_lshlrev_b32_e32 v3, 3, v3
	ds_read_b64 v[3:4], v3
	s_waitcnt lgkmcnt(0)
	v_lshlrev_b64 v[3:4], 1, v[3:4]
	v_add_co_u32_e64 v3, s[46:47], s58, v3
	v_addc_co_u32_e64 v4, s[46:47], v6, v4, s[46:47]
	v_add_co_u32_e64 v3, s[46:47], v3, v7
	v_addc_co_u32_e64 v4, s[46:47], 0, v4, s[46:47]
	global_store_short v[3:4], v5, off
.LBB25_85:
	;; [unrolled: 23-line block ×4, first 2 shown]
	s_or_b64 exec, exec, s[70:71]
	s_lshl_b64 s[52:53], s[54:55], 3
	s_add_u32 s52, s60, s52
	s_addc_u32 s53, s61, s53
	v_lshlrev_b32_e32 v3, 3, v9
	v_mov_b32_e32 v4, s53
	v_add_co_u32_e64 v3, s[52:53], s52, v3
	v_addc_co_u32_e64 v4, s[52:53], 0, v4, s[52:53]
	v_lshlrev_b32_e32 v5, 3, v10
	v_add_co_u32_e64 v27, s[52:53], v3, v5
	v_addc_co_u32_e64 v28, s[52:53], 0, v4, s[52:53]
                                        ; implicit-def: $vgpr3_vgpr4
	s_and_saveexec_b64 s[52:53], vcc
	s_xor_b64 s[52:53], exec, s[52:53]
	s_cbranch_execz .LBB25_101
; %bb.90:
	global_load_dwordx2 v[3:4], v[27:28], off
	s_or_b64 exec, exec, s[52:53]
                                        ; implicit-def: $vgpr5_vgpr6
	s_and_saveexec_b64 s[52:53], s[0:1]
	s_cbranch_execnz .LBB25_102
.LBB25_91:
	s_or_b64 exec, exec, s[52:53]
                                        ; implicit-def: $vgpr7_vgpr8
	s_and_saveexec_b64 s[0:1], s[2:3]
	s_cbranch_execz .LBB25_103
.LBB25_92:
	global_load_dwordx2 v[7:8], v[27:28], off offset:1024
	s_or_b64 exec, exec, s[0:1]
                                        ; implicit-def: $vgpr9_vgpr10
	s_and_saveexec_b64 s[0:1], s[50:51]
	s_cbranch_execnz .LBB25_104
.LBB25_93:
	s_or_b64 exec, exec, s[0:1]
                                        ; implicit-def: $vgpr11_vgpr12
	s_and_saveexec_b64 s[0:1], s[8:9]
	s_cbranch_execz .LBB25_105
.LBB25_94:
	global_load_dwordx2 v[11:12], v[27:28], off offset:2048
	s_or_b64 exec, exec, s[0:1]
                                        ; implicit-def: $vgpr13_vgpr14
	s_and_saveexec_b64 s[0:1], s[10:11]
	s_cbranch_execnz .LBB25_106
.LBB25_95:
	s_or_b64 exec, exec, s[0:1]
                                        ; implicit-def: $vgpr15_vgpr16
	s_and_saveexec_b64 s[0:1], s[12:13]
	s_cbranch_execz .LBB25_107
.LBB25_96:
	global_load_dwordx2 v[15:16], v[27:28], off offset:3072
	s_or_b64 exec, exec, s[0:1]
                                        ; implicit-def: $vgpr17_vgpr18
	s_and_saveexec_b64 s[0:1], s[14:15]
	s_cbranch_execnz .LBB25_108
.LBB25_97:
	s_or_b64 exec, exec, s[0:1]
                                        ; implicit-def: $vgpr19_vgpr20
	s_and_saveexec_b64 s[0:1], s[16:17]
	s_cbranch_execz .LBB25_109
.LBB25_98:
	v_add_co_u32_e32 v19, vcc, 0x1000, v27
	v_addc_co_u32_e32 v20, vcc, 0, v28, vcc
	global_load_dwordx2 v[19:20], v[19:20], off
	s_or_b64 exec, exec, s[0:1]
                                        ; implicit-def: $vgpr21_vgpr22
	s_and_saveexec_b64 s[0:1], s[18:19]
	s_cbranch_execnz .LBB25_110
.LBB25_99:
	s_or_b64 exec, exec, s[0:1]
                                        ; implicit-def: $vgpr23_vgpr24
	s_and_saveexec_b64 s[0:1], s[20:21]
	s_cbranch_execz .LBB25_111
.LBB25_100:
	v_add_co_u32_e32 v23, vcc, 0x1000, v27
	v_addc_co_u32_e32 v24, vcc, 0, v28, vcc
	global_load_dwordx2 v[23:24], v[23:24], off offset:1024
	s_or_b64 exec, exec, s[0:1]
                                        ; implicit-def: $vgpr25_vgpr26
	s_and_saveexec_b64 s[0:1], s[22:23]
	s_cbranch_execnz .LBB25_112
	s_branch .LBB25_113
.LBB25_101:
	s_or_b64 exec, exec, s[52:53]
                                        ; implicit-def: $vgpr5_vgpr6
	s_and_saveexec_b64 s[52:53], s[0:1]
	s_cbranch_execz .LBB25_91
.LBB25_102:
	global_load_dwordx2 v[5:6], v[27:28], off offset:512
	s_or_b64 exec, exec, s[52:53]
                                        ; implicit-def: $vgpr7_vgpr8
	s_and_saveexec_b64 s[0:1], s[2:3]
	s_cbranch_execnz .LBB25_92
.LBB25_103:
	s_or_b64 exec, exec, s[0:1]
                                        ; implicit-def: $vgpr9_vgpr10
	s_and_saveexec_b64 s[0:1], s[50:51]
	s_cbranch_execz .LBB25_93
.LBB25_104:
	global_load_dwordx2 v[9:10], v[27:28], off offset:1536
	s_or_b64 exec, exec, s[0:1]
                                        ; implicit-def: $vgpr11_vgpr12
	s_and_saveexec_b64 s[0:1], s[8:9]
	s_cbranch_execnz .LBB25_94
.LBB25_105:
	s_or_b64 exec, exec, s[0:1]
                                        ; implicit-def: $vgpr13_vgpr14
	s_and_saveexec_b64 s[0:1], s[10:11]
	s_cbranch_execz .LBB25_95
.LBB25_106:
	global_load_dwordx2 v[13:14], v[27:28], off offset:2560
	s_or_b64 exec, exec, s[0:1]
                                        ; implicit-def: $vgpr15_vgpr16
	s_and_saveexec_b64 s[0:1], s[12:13]
	s_cbranch_execnz .LBB25_96
.LBB25_107:
	s_or_b64 exec, exec, s[0:1]
                                        ; implicit-def: $vgpr17_vgpr18
	s_and_saveexec_b64 s[0:1], s[14:15]
	s_cbranch_execz .LBB25_97
.LBB25_108:
	global_load_dwordx2 v[17:18], v[27:28], off offset:3584
	s_or_b64 exec, exec, s[0:1]
                                        ; implicit-def: $vgpr19_vgpr20
	s_and_saveexec_b64 s[0:1], s[16:17]
	s_cbranch_execnz .LBB25_98
.LBB25_109:
	s_or_b64 exec, exec, s[0:1]
                                        ; implicit-def: $vgpr21_vgpr22
	s_and_saveexec_b64 s[0:1], s[18:19]
	s_cbranch_execz .LBB25_99
.LBB25_110:
	v_add_co_u32_e32 v21, vcc, 0x1000, v27
	v_addc_co_u32_e32 v22, vcc, 0, v28, vcc
	global_load_dwordx2 v[21:22], v[21:22], off offset:512
	s_or_b64 exec, exec, s[0:1]
                                        ; implicit-def: $vgpr23_vgpr24
	s_and_saveexec_b64 s[0:1], s[20:21]
	s_cbranch_execnz .LBB25_100
.LBB25_111:
	s_or_b64 exec, exec, s[0:1]
                                        ; implicit-def: $vgpr25_vgpr26
	s_and_saveexec_b64 s[0:1], s[22:23]
	s_cbranch_execz .LBB25_113
.LBB25_112:
	v_add_co_u32_e32 v25, vcc, 0x1000, v27
	v_addc_co_u32_e32 v26, vcc, 0, v28, vcc
	global_load_dwordx2 v[25:26], v[25:26], off offset:1536
.LBB25_113:
	s_or_b64 exec, exec, s[0:1]
	v_mov_b32_e32 v62, 0
	v_mov_b32_e32 v64, 0
	s_and_saveexec_b64 s[0:1], s[24:25]
	s_cbranch_execz .LBB25_115
; %bb.114:
	v_lshlrev_b32_e32 v27, 1, v0
	ds_read_u16 v27, v27 offset:2048
	s_waitcnt lgkmcnt(0)
	v_lshrrev_b32_e32 v27, s68, v27
	v_and_b32_e32 v64, s74, v27
.LBB25_115:
	s_or_b64 exec, exec, s[0:1]
	s_and_saveexec_b64 s[0:1], s[26:27]
	s_cbranch_execz .LBB25_117
; %bb.116:
	v_lshlrev_b32_e32 v27, 1, v0
	ds_read_u16 v27, v27 offset:2560
	s_waitcnt lgkmcnt(0)
	v_lshrrev_b32_e32 v27, s68, v27
	v_and_b32_e32 v62, s74, v27
.LBB25_117:
	s_or_b64 exec, exec, s[0:1]
	v_mov_b32_e32 v60, 0
	v_mov_b32_e32 v63, 0
	s_and_saveexec_b64 s[0:1], s[28:29]
	s_cbranch_execz .LBB25_119
; %bb.118:
	v_lshlrev_b32_e32 v27, 1, v0
	ds_read_u16 v27, v27 offset:3072
	s_waitcnt lgkmcnt(0)
	v_lshrrev_b32_e32 v27, s68, v27
	v_and_b32_e32 v63, s74, v27
.LBB25_119:
	s_or_b64 exec, exec, s[0:1]
	s_and_saveexec_b64 s[0:1], s[30:31]
	s_cbranch_execz .LBB25_121
; %bb.120:
	v_lshlrev_b32_e32 v27, 1, v0
	ds_read_u16 v27, v27 offset:3584
	s_waitcnt lgkmcnt(0)
	v_lshrrev_b32_e32 v27, s68, v27
	v_and_b32_e32 v60, s74, v27
.LBB25_121:
	;; [unrolled: 22-line block ×6, first 2 shown]
	s_or_b64 exec, exec, s[0:1]
	v_lshlrev_b32_e32 v46, 3, v46
	s_waitcnt vmcnt(0)
	s_barrier
	ds_write_b64 v46, v[3:4] offset:2048
	v_lshlrev_b32_e32 v3, 3, v45
	ds_write_b64 v3, v[5:6] offset:2048
	v_lshlrev_b32_e32 v3, 3, v44
	;; [unrolled: 2-line block ×11, first 2 shown]
	ds_write_b64 v3, v[25:26] offset:2048
	s_waitcnt lgkmcnt(0)
	s_barrier
	s_and_saveexec_b64 s[0:1], s[24:25]
	s_cbranch_execz .LBB25_196
; %bb.138:
	v_lshlrev_b32_e32 v3, 3, v64
	ds_read_b64 v[3:4], v3
	ds_read_b64 v[5:6], v32 offset:2048
	v_mov_b32_e32 v7, s63
	s_waitcnt lgkmcnt(1)
	v_lshlrev_b64 v[3:4], 3, v[3:4]
	v_add_co_u32_e32 v3, vcc, s62, v3
	v_addc_co_u32_e32 v4, vcc, v7, v4, vcc
	v_add_co_u32_e32 v3, vcc, v3, v32
	v_addc_co_u32_e32 v4, vcc, 0, v4, vcc
	s_waitcnt lgkmcnt(0)
	global_store_dwordx2 v[3:4], v[5:6], off
	s_or_b64 exec, exec, s[0:1]
	s_and_saveexec_b64 s[0:1], s[26:27]
	s_cbranch_execnz .LBB25_197
.LBB25_139:
	s_or_b64 exec, exec, s[0:1]
	s_and_saveexec_b64 s[0:1], s[28:29]
	s_cbranch_execz .LBB25_198
.LBB25_140:
	v_lshlrev_b32_e32 v3, 3, v63
	ds_read_b64 v[3:4], v3
	ds_read_b64 v[5:6], v32 offset:6144
	v_mov_b32_e32 v7, s63
	s_waitcnt lgkmcnt(1)
	v_lshlrev_b64 v[3:4], 3, v[3:4]
	v_add_co_u32_e32 v3, vcc, s62, v3
	v_addc_co_u32_e32 v4, vcc, v7, v4, vcc
	v_lshlrev_b32_e32 v7, 3, v41
	v_add_co_u32_e32 v3, vcc, v3, v7
	v_addc_co_u32_e32 v4, vcc, 0, v4, vcc
	s_waitcnt lgkmcnt(0)
	global_store_dwordx2 v[3:4], v[5:6], off
	s_or_b64 exec, exec, s[0:1]
	s_and_saveexec_b64 s[0:1], s[30:31]
	s_cbranch_execnz .LBB25_199
.LBB25_141:
	s_or_b64 exec, exec, s[0:1]
	s_and_saveexec_b64 s[0:1], s[34:35]
	s_cbranch_execz .LBB25_200
.LBB25_142:
	v_lshlrev_b32_e32 v3, 3, v61
	ds_read_b64 v[3:4], v3
	ds_read_b64 v[5:6], v32 offset:10240
	v_mov_b32_e32 v7, s63
	s_waitcnt lgkmcnt(1)
	v_lshlrev_b64 v[3:4], 3, v[3:4]
	v_add_co_u32_e32 v3, vcc, s62, v3
	v_addc_co_u32_e32 v4, vcc, v7, v4, vcc
	v_lshlrev_b32_e32 v7, 3, v47
	v_add_co_u32_e32 v3, vcc, v3, v7
	v_addc_co_u32_e32 v4, vcc, 0, v4, vcc
	s_waitcnt lgkmcnt(0)
	global_store_dwordx2 v[3:4], v[5:6], off
	s_or_b64 exec, exec, s[0:1]
	s_and_saveexec_b64 s[0:1], s[36:37]
	s_cbranch_execnz .LBB25_201
.LBB25_143:
	s_or_b64 exec, exec, s[0:1]
	s_and_saveexec_b64 s[0:1], s[38:39]
	s_cbranch_execz .LBB25_202
.LBB25_144:
	v_lshlrev_b32_e32 v3, 3, v59
	ds_read_b64 v[3:4], v3
	ds_read_b64 v[5:6], v32 offset:14336
	v_mov_b32_e32 v7, s63
	s_waitcnt lgkmcnt(1)
	v_lshlrev_b64 v[3:4], 3, v[3:4]
	v_add_co_u32_e32 v3, vcc, s62, v3
	v_addc_co_u32_e32 v4, vcc, v7, v4, vcc
	v_lshlrev_b32_e32 v7, 3, v49
	v_add_co_u32_e32 v3, vcc, v3, v7
	v_addc_co_u32_e32 v4, vcc, 0, v4, vcc
	s_waitcnt lgkmcnt(0)
	global_store_dwordx2 v[3:4], v[5:6], off
	s_or_b64 exec, exec, s[0:1]
	s_and_saveexec_b64 s[0:1], s[40:41]
	s_cbranch_execnz .LBB25_203
.LBB25_145:
	s_or_b64 exec, exec, s[0:1]
	s_and_saveexec_b64 s[0:1], s[42:43]
	s_cbranch_execz .LBB25_204
.LBB25_146:
	v_lshlrev_b32_e32 v3, 3, v57
	ds_read_b64 v[3:4], v3
	ds_read_b64 v[5:6], v32 offset:18432
	v_mov_b32_e32 v7, s63
	s_waitcnt lgkmcnt(1)
	v_lshlrev_b64 v[3:4], 3, v[3:4]
	v_add_co_u32_e32 v3, vcc, s62, v3
	v_addc_co_u32_e32 v4, vcc, v7, v4, vcc
	v_lshlrev_b32_e32 v7, 3, v51
	v_add_co_u32_e32 v3, vcc, v3, v7
	v_addc_co_u32_e32 v4, vcc, 0, v4, vcc
	s_waitcnt lgkmcnt(0)
	global_store_dwordx2 v[3:4], v[5:6], off
	s_or_b64 exec, exec, s[0:1]
	s_and_saveexec_b64 s[0:1], s[44:45]
	s_cbranch_execnz .LBB25_205
.LBB25_147:
	s_or_b64 exec, exec, s[0:1]
	s_and_saveexec_b64 s[0:1], s[46:47]
	s_cbranch_execz .LBB25_206
.LBB25_148:
	v_lshlrev_b32_e32 v3, 3, v55
	ds_read_b64 v[3:4], v3
	ds_read_b64 v[5:6], v32 offset:22528
	v_mov_b32_e32 v7, s63
	s_waitcnt lgkmcnt(1)
	v_lshlrev_b64 v[3:4], 3, v[3:4]
	v_add_co_u32_e32 v3, vcc, s62, v3
	v_addc_co_u32_e32 v4, vcc, v7, v4, vcc
	v_lshlrev_b32_e32 v7, 3, v53
	v_add_co_u32_e32 v3, vcc, v3, v7
	v_addc_co_u32_e32 v4, vcc, 0, v4, vcc
	s_waitcnt lgkmcnt(0)
	global_store_dwordx2 v[3:4], v[5:6], off
	s_or_b64 exec, exec, s[0:1]
	s_and_saveexec_b64 s[0:1], s[48:49]
	s_cbranch_execnz .LBB25_207
.LBB25_149:
	s_or_b64 exec, exec, s[0:1]
	s_add_i32 s33, s33, -1
	s_cmp_eq_u32 s6, s33
	s_cbranch_scc0 .LBB25_151
.LBB25_150:
	ds_read_b64 v[3:4], v32
	v_add_co_u32_e32 v5, vcc, v31, v30
	v_addc_co_u32_e64 v6, s[0:1], 0, 0, vcc
	s_waitcnt lgkmcnt(0)
	v_add_co_u32_e32 v3, vcc, v5, v3
	v_addc_co_u32_e32 v4, vcc, v6, v4, vcc
	global_store_dwordx2 v32, v[3:4], s[66:67]
.LBB25_151:
	s_mov_b64 s[0:1], 0
.LBB25_152:
	s_and_b64 vcc, exec, s[0:1]
	s_cbranch_vccz .LBB25_195
; %bb.153:
	s_mov_b32 s55, 0
	s_lshl_b64 s[0:1], s[54:55], 1
	v_mbcnt_hi_u32_b32 v8, -1, v29
	s_add_u32 s0, s56, s0
	v_lshlrev_b32_e32 v4, 1, v8
	v_add_co_u32_e32 v4, vcc, s0, v4
	s_load_dword s8, s[4:5], 0x50
	s_load_dword s0, s[4:5], 0x5c
	s_addc_u32 s1, s57, s1
	v_and_b32_e32 v20, 0xc0, v0
	v_mul_u32_u24_e32 v7, 12, v20
	v_mov_b32_e32 v5, s1
	s_add_u32 s1, s4, 0x50
	v_addc_co_u32_e32 v5, vcc, 0, v5, vcc
	v_lshlrev_b32_e32 v6, 1, v7
	s_addc_u32 s2, s5, 0
	s_waitcnt lgkmcnt(0)
	s_lshr_b32 s3, s0, 16
	v_add_co_u32_e32 v21, vcc, v4, v6
	s_cmp_lt_u32 s6, s8
	v_addc_co_u32_e32 v22, vcc, 0, v5, vcc
	s_cselect_b32 s0, 12, 18
	global_load_ushort v5, v[21:22], off
	s_add_u32 s0, s1, s0
	v_mov_b32_e32 v3, 0
	s_addc_u32 s1, s2, 0
	global_load_ushort v23, v3, s[0:1]
	v_mul_u32_u24_e32 v19, 20, v0
	ds_write2_b32 v19, v3, v3 offset0:4 offset1:5
	ds_write2_b32 v19, v3, v3 offset0:6 offset1:7
	ds_write_b32 v19, v3 offset:32
	global_load_ushort v18, v[21:22], off offset:128
	global_load_ushort v17, v[21:22], off offset:256
	;; [unrolled: 1-line block ×11, first 2 shown]
	s_lshl_b32 s0, -1, s69
	v_mad_u32_u24 v1, v2, s3, v1
	s_not_b32 s9, s0
	s_waitcnt vmcnt(0) lgkmcnt(0)
	s_barrier
	; wave barrier
	v_lshrrev_b32_sdwa v2, s68, v5 dst_sel:DWORD dst_unused:UNUSED_PAD src0_sel:DWORD src1_sel:WORD_0
	v_and_b32_e32 v21, s9, v2
	v_and_b32_e32 v24, 1, v21
	v_lshlrev_b32_e32 v4, 30, v21
	v_mad_u64_u32 v[1:2], s[0:1], v1, v23, v[0:1]
	v_add_co_u32_e32 v2, vcc, -1, v24
	v_addc_co_u32_e64 v23, s[0:1], 0, -1, vcc
	v_cmp_ne_u32_e32 vcc, 0, v24
	v_cmp_gt_i64_e64 s[0:1], 0, v[3:4]
	v_not_b32_e32 v24, v4
	v_lshlrev_b32_e32 v4, 29, v21
	v_xor_b32_e32 v23, vcc_hi, v23
	v_xor_b32_e32 v2, vcc_lo, v2
	v_ashrrev_i32_e32 v24, 31, v24
	v_cmp_gt_i64_e32 vcc, 0, v[3:4]
	v_not_b32_e32 v25, v4
	v_lshlrev_b32_e32 v4, 28, v21
	v_and_b32_e32 v23, exec_hi, v23
	v_and_b32_e32 v2, exec_lo, v2
	v_xor_b32_e32 v26, s1, v24
	v_xor_b32_e32 v24, s0, v24
	v_ashrrev_i32_e32 v25, 31, v25
	v_cmp_gt_i64_e64 s[0:1], 0, v[3:4]
	v_not_b32_e32 v27, v4
	v_lshlrev_b32_e32 v4, 27, v21
	v_and_b32_e32 v23, v23, v26
	v_and_b32_e32 v2, v2, v24
	v_xor_b32_e32 v24, vcc_hi, v25
	v_xor_b32_e32 v25, vcc_lo, v25
	v_ashrrev_i32_e32 v26, 31, v27
	v_cmp_gt_i64_e32 vcc, 0, v[3:4]
	v_not_b32_e32 v4, v4
	v_lshrrev_b32_e32 v1, 4, v1
	v_and_b32_e32 v23, v23, v24
	v_and_b32_e32 v2, v2, v25
	v_xor_b32_e32 v24, s1, v26
	v_xor_b32_e32 v26, s0, v26
	v_ashrrev_i32_e32 v4, 31, v4
	v_and_b32_e32 v25, 0xffffffc, v1
	v_and_b32_e32 v1, v23, v24
	v_and_b32_e32 v2, v2, v26
	v_xor_b32_e32 v23, vcc_hi, v4
	v_xor_b32_e32 v4, vcc_lo, v4
	v_and_b32_e32 v2, v2, v4
	v_lshlrev_b32_e32 v4, 26, v21
	v_cmp_gt_i64_e32 vcc, 0, v[3:4]
	v_not_b32_e32 v4, v4
	v_ashrrev_i32_e32 v4, 31, v4
	v_and_b32_e32 v1, v1, v23
	v_xor_b32_e32 v23, vcc_hi, v4
	v_xor_b32_e32 v4, vcc_lo, v4
	v_and_b32_e32 v2, v2, v4
	v_lshlrev_b32_e32 v4, 25, v21
	v_cmp_gt_i64_e32 vcc, 0, v[3:4]
	v_not_b32_e32 v4, v4
	v_ashrrev_i32_e32 v4, 31, v4
	v_and_b32_e32 v1, v1, v23
	v_xor_b32_e32 v23, vcc_hi, v4
	v_xor_b32_e32 v4, vcc_lo, v4
	v_and_b32_e32 v1, v1, v23
	v_and_b32_e32 v23, v2, v4
	v_lshlrev_b32_e32 v4, 24, v21
	v_cmp_gt_i64_e32 vcc, 0, v[3:4]
	v_not_b32_e32 v2, v4
	v_ashrrev_i32_e32 v2, 31, v2
	v_mul_u32_u24_e32 v22, 20, v21
	v_xor_b32_e32 v4, vcc_hi, v2
	v_xor_b32_e32 v21, vcc_lo, v2
	v_and_b32_e32 v2, v1, v4
	v_and_b32_e32 v1, v23, v21
	v_mbcnt_lo_u32_b32 v4, v1, 0
	v_mbcnt_hi_u32_b32 v21, v2, v4
	v_cmp_ne_u64_e32 vcc, 0, v[1:2]
	v_cmp_eq_u32_e64 s[0:1], 0, v21
	s_and_b64 s[2:3], vcc, s[0:1]
	v_add_u32_e32 v23, v25, v22
	s_and_saveexec_b64 s[0:1], s[2:3]
; %bb.154:
	v_bcnt_u32_b32 v1, v1, 0
	v_bcnt_u32_b32 v1, v2, v1
	ds_write_b32 v23, v1 offset:16
; %bb.155:
	s_or_b64 exec, exec, s[0:1]
	v_lshrrev_b32_sdwa v1, s68, v18 dst_sel:DWORD dst_unused:UNUSED_PAD src0_sel:DWORD src1_sel:WORD_0
	v_and_b32_e32 v1, s9, v1
	v_mad_u32_u24 v2, v1, 20, v25
	; wave barrier
	ds_read_b32 v22, v2 offset:16
	v_and_b32_e32 v2, 1, v1
	v_add_co_u32_e32 v4, vcc, -1, v2
	v_addc_co_u32_e64 v24, s[0:1], 0, -1, vcc
	v_cmp_ne_u32_e32 vcc, 0, v2
	v_xor_b32_e32 v4, vcc_lo, v4
	v_xor_b32_e32 v2, vcc_hi, v24
	v_and_b32_e32 v24, exec_lo, v4
	v_lshlrev_b32_e32 v4, 30, v1
	v_cmp_gt_i64_e32 vcc, 0, v[3:4]
	v_not_b32_e32 v4, v4
	v_ashrrev_i32_e32 v4, 31, v4
	v_xor_b32_e32 v27, vcc_hi, v4
	v_xor_b32_e32 v4, vcc_lo, v4
	v_and_b32_e32 v24, v24, v4
	v_lshlrev_b32_e32 v4, 29, v1
	v_cmp_gt_i64_e32 vcc, 0, v[3:4]
	v_not_b32_e32 v4, v4
	v_and_b32_e32 v2, exec_hi, v2
	v_ashrrev_i32_e32 v4, 31, v4
	v_and_b32_e32 v2, v2, v27
	v_xor_b32_e32 v27, vcc_hi, v4
	v_xor_b32_e32 v4, vcc_lo, v4
	v_and_b32_e32 v24, v24, v4
	v_lshlrev_b32_e32 v4, 28, v1
	v_cmp_gt_i64_e32 vcc, 0, v[3:4]
	v_not_b32_e32 v4, v4
	v_ashrrev_i32_e32 v4, 31, v4
	v_and_b32_e32 v2, v2, v27
	v_xor_b32_e32 v27, vcc_hi, v4
	v_xor_b32_e32 v4, vcc_lo, v4
	v_and_b32_e32 v24, v24, v4
	v_lshlrev_b32_e32 v4, 27, v1
	v_cmp_gt_i64_e32 vcc, 0, v[3:4]
	v_not_b32_e32 v4, v4
	;; [unrolled: 8-line block ×4, first 2 shown]
	v_ashrrev_i32_e32 v4, 31, v4
	v_and_b32_e32 v2, v2, v27
	v_xor_b32_e32 v27, vcc_hi, v4
	v_xor_b32_e32 v4, vcc_lo, v4
	v_and_b32_e32 v24, v24, v4
	v_lshlrev_b32_e32 v4, 24, v1
	v_mul_u32_u24_e32 v26, 20, v1
	v_cmp_gt_i64_e32 vcc, 0, v[3:4]
	v_not_b32_e32 v1, v4
	v_ashrrev_i32_e32 v1, 31, v1
	v_xor_b32_e32 v3, vcc_hi, v1
	v_xor_b32_e32 v1, vcc_lo, v1
	v_and_b32_e32 v2, v2, v27
	v_and_b32_e32 v1, v24, v1
	;; [unrolled: 1-line block ×3, first 2 shown]
	v_mbcnt_lo_u32_b32 v3, v1, 0
	v_mbcnt_hi_u32_b32 v24, v2, v3
	v_cmp_ne_u64_e32 vcc, 0, v[1:2]
	v_cmp_eq_u32_e64 s[0:1], 0, v24
	s_and_b64 s[2:3], vcc, s[0:1]
	v_add_u32_e32 v27, v25, v26
	; wave barrier
	s_and_saveexec_b64 s[0:1], s[2:3]
	s_cbranch_execz .LBB25_157
; %bb.156:
	v_bcnt_u32_b32 v1, v1, 0
	v_bcnt_u32_b32 v1, v2, v1
	s_waitcnt lgkmcnt(0)
	v_add_u32_e32 v1, v22, v1
	ds_write_b32 v27, v1 offset:16
.LBB25_157:
	s_or_b64 exec, exec, s[0:1]
	v_lshrrev_b32_sdwa v1, s68, v17 dst_sel:DWORD dst_unused:UNUSED_PAD src0_sel:DWORD src1_sel:WORD_0
	v_and_b32_e32 v3, s9, v1
	v_and_b32_e32 v2, 1, v3
	v_add_co_u32_e32 v28, vcc, -1, v2
	v_addc_co_u32_e64 v29, s[0:1], 0, -1, vcc
	v_cmp_ne_u32_e32 vcc, 0, v2
	v_mad_u32_u24 v1, v3, 20, v25
	v_xor_b32_e32 v2, vcc_hi, v29
	; wave barrier
	ds_read_b32 v26, v1 offset:16
	v_mov_b32_e32 v1, 0
	v_and_b32_e32 v29, exec_hi, v2
	v_lshlrev_b32_e32 v2, 30, v3
	v_xor_b32_e32 v28, vcc_lo, v28
	v_cmp_gt_i64_e32 vcc, 0, v[1:2]
	v_not_b32_e32 v2, v2
	v_ashrrev_i32_e32 v2, 31, v2
	v_and_b32_e32 v28, exec_lo, v28
	v_xor_b32_e32 v30, vcc_hi, v2
	v_xor_b32_e32 v2, vcc_lo, v2
	v_and_b32_e32 v28, v28, v2
	v_lshlrev_b32_e32 v2, 29, v3
	v_cmp_gt_i64_e32 vcc, 0, v[1:2]
	v_not_b32_e32 v2, v2
	v_ashrrev_i32_e32 v2, 31, v2
	v_and_b32_e32 v29, v29, v30
	v_xor_b32_e32 v30, vcc_hi, v2
	v_xor_b32_e32 v2, vcc_lo, v2
	v_and_b32_e32 v28, v28, v2
	v_lshlrev_b32_e32 v2, 28, v3
	v_cmp_gt_i64_e32 vcc, 0, v[1:2]
	v_not_b32_e32 v2, v2
	v_ashrrev_i32_e32 v2, 31, v2
	v_and_b32_e32 v29, v29, v30
	;; [unrolled: 8-line block ×5, first 2 shown]
	v_xor_b32_e32 v30, vcc_hi, v2
	v_xor_b32_e32 v2, vcc_lo, v2
	v_and_b32_e32 v28, v28, v2
	v_lshlrev_b32_e32 v2, 24, v3
	v_cmp_gt_i64_e32 vcc, 0, v[1:2]
	v_not_b32_e32 v2, v2
	v_ashrrev_i32_e32 v2, 31, v2
	v_mul_u32_u24_e32 v4, 20, v3
	v_xor_b32_e32 v3, vcc_hi, v2
	v_xor_b32_e32 v2, vcc_lo, v2
	v_and_b32_e32 v29, v29, v30
	v_and_b32_e32 v2, v28, v2
	;; [unrolled: 1-line block ×3, first 2 shown]
	v_mbcnt_lo_u32_b32 v28, v2, 0
	v_mbcnt_hi_u32_b32 v28, v3, v28
	v_cmp_ne_u64_e32 vcc, 0, v[2:3]
	v_cmp_eq_u32_e64 s[0:1], 0, v28
	s_and_b64 s[2:3], vcc, s[0:1]
	v_add_u32_e32 v30, v25, v4
	; wave barrier
	s_and_saveexec_b64 s[0:1], s[2:3]
	s_cbranch_execz .LBB25_159
; %bb.158:
	v_bcnt_u32_b32 v2, v2, 0
	v_bcnt_u32_b32 v2, v3, v2
	s_waitcnt lgkmcnt(0)
	v_add_u32_e32 v2, v26, v2
	ds_write_b32 v30, v2 offset:16
.LBB25_159:
	s_or_b64 exec, exec, s[0:1]
	v_lshrrev_b32_sdwa v2, s68, v16 dst_sel:DWORD dst_unused:UNUSED_PAD src0_sel:DWORD src1_sel:WORD_0
	v_and_b32_e32 v3, s9, v2
	v_mad_u32_u24 v2, v3, 20, v25
	; wave barrier
	ds_read_b32 v29, v2 offset:16
	v_and_b32_e32 v2, 1, v3
	v_add_co_u32_e32 v31, vcc, -1, v2
	v_addc_co_u32_e64 v32, s[0:1], 0, -1, vcc
	v_cmp_ne_u32_e32 vcc, 0, v2
	v_xor_b32_e32 v2, vcc_hi, v32
	v_and_b32_e32 v32, exec_hi, v2
	v_lshlrev_b32_e32 v2, 30, v3
	v_xor_b32_e32 v31, vcc_lo, v31
	v_cmp_gt_i64_e32 vcc, 0, v[1:2]
	v_not_b32_e32 v2, v2
	v_ashrrev_i32_e32 v2, 31, v2
	v_and_b32_e32 v31, exec_lo, v31
	v_xor_b32_e32 v33, vcc_hi, v2
	v_xor_b32_e32 v2, vcc_lo, v2
	v_and_b32_e32 v31, v31, v2
	v_lshlrev_b32_e32 v2, 29, v3
	v_cmp_gt_i64_e32 vcc, 0, v[1:2]
	v_not_b32_e32 v2, v2
	v_ashrrev_i32_e32 v2, 31, v2
	v_and_b32_e32 v32, v32, v33
	v_xor_b32_e32 v33, vcc_hi, v2
	v_xor_b32_e32 v2, vcc_lo, v2
	v_and_b32_e32 v31, v31, v2
	v_lshlrev_b32_e32 v2, 28, v3
	v_cmp_gt_i64_e32 vcc, 0, v[1:2]
	v_not_b32_e32 v2, v2
	v_ashrrev_i32_e32 v2, 31, v2
	v_and_b32_e32 v32, v32, v33
	;; [unrolled: 8-line block ×5, first 2 shown]
	v_xor_b32_e32 v33, vcc_hi, v2
	v_xor_b32_e32 v2, vcc_lo, v2
	v_and_b32_e32 v31, v31, v2
	v_lshlrev_b32_e32 v2, 24, v3
	v_cmp_gt_i64_e32 vcc, 0, v[1:2]
	v_not_b32_e32 v1, v2
	v_ashrrev_i32_e32 v1, 31, v1
	v_xor_b32_e32 v2, vcc_hi, v1
	v_xor_b32_e32 v1, vcc_lo, v1
	v_and_b32_e32 v32, v32, v33
	v_and_b32_e32 v1, v31, v1
	v_mul_u32_u24_e32 v4, 20, v3
	v_and_b32_e32 v2, v32, v2
	v_mbcnt_lo_u32_b32 v3, v1, 0
	v_mbcnt_hi_u32_b32 v31, v2, v3
	v_cmp_ne_u64_e32 vcc, 0, v[1:2]
	v_cmp_eq_u32_e64 s[0:1], 0, v31
	s_and_b64 s[2:3], vcc, s[0:1]
	v_add_u32_e32 v33, v25, v4
	; wave barrier
	s_and_saveexec_b64 s[0:1], s[2:3]
	s_cbranch_execz .LBB25_161
; %bb.160:
	v_bcnt_u32_b32 v1, v1, 0
	v_bcnt_u32_b32 v1, v2, v1
	s_waitcnt lgkmcnt(0)
	v_add_u32_e32 v1, v29, v1
	ds_write_b32 v33, v1 offset:16
.LBB25_161:
	s_or_b64 exec, exec, s[0:1]
	v_lshrrev_b32_sdwa v1, s68, v15 dst_sel:DWORD dst_unused:UNUSED_PAD src0_sel:DWORD src1_sel:WORD_0
	v_and_b32_e32 v3, s9, v1
	v_and_b32_e32 v2, 1, v3
	v_add_co_u32_e32 v34, vcc, -1, v2
	v_addc_co_u32_e64 v35, s[0:1], 0, -1, vcc
	v_cmp_ne_u32_e32 vcc, 0, v2
	v_mad_u32_u24 v1, v3, 20, v25
	v_xor_b32_e32 v2, vcc_hi, v35
	; wave barrier
	ds_read_b32 v32, v1 offset:16
	v_mov_b32_e32 v1, 0
	v_and_b32_e32 v35, exec_hi, v2
	v_lshlrev_b32_e32 v2, 30, v3
	v_xor_b32_e32 v34, vcc_lo, v34
	v_cmp_gt_i64_e32 vcc, 0, v[1:2]
	v_not_b32_e32 v2, v2
	v_ashrrev_i32_e32 v2, 31, v2
	v_and_b32_e32 v34, exec_lo, v34
	v_xor_b32_e32 v36, vcc_hi, v2
	v_xor_b32_e32 v2, vcc_lo, v2
	v_and_b32_e32 v34, v34, v2
	v_lshlrev_b32_e32 v2, 29, v3
	v_cmp_gt_i64_e32 vcc, 0, v[1:2]
	v_not_b32_e32 v2, v2
	v_ashrrev_i32_e32 v2, 31, v2
	v_and_b32_e32 v35, v35, v36
	v_xor_b32_e32 v36, vcc_hi, v2
	v_xor_b32_e32 v2, vcc_lo, v2
	v_and_b32_e32 v34, v34, v2
	v_lshlrev_b32_e32 v2, 28, v3
	v_cmp_gt_i64_e32 vcc, 0, v[1:2]
	v_not_b32_e32 v2, v2
	v_ashrrev_i32_e32 v2, 31, v2
	v_and_b32_e32 v35, v35, v36
	;; [unrolled: 8-line block ×5, first 2 shown]
	v_xor_b32_e32 v36, vcc_hi, v2
	v_xor_b32_e32 v2, vcc_lo, v2
	v_and_b32_e32 v34, v34, v2
	v_lshlrev_b32_e32 v2, 24, v3
	v_cmp_gt_i64_e32 vcc, 0, v[1:2]
	v_not_b32_e32 v2, v2
	v_ashrrev_i32_e32 v2, 31, v2
	v_mul_u32_u24_e32 v4, 20, v3
	v_xor_b32_e32 v3, vcc_hi, v2
	v_xor_b32_e32 v2, vcc_lo, v2
	v_and_b32_e32 v35, v35, v36
	v_and_b32_e32 v2, v34, v2
	;; [unrolled: 1-line block ×3, first 2 shown]
	v_mbcnt_lo_u32_b32 v34, v2, 0
	v_mbcnt_hi_u32_b32 v34, v3, v34
	v_cmp_ne_u64_e32 vcc, 0, v[2:3]
	v_cmp_eq_u32_e64 s[0:1], 0, v34
	s_and_b64 s[2:3], vcc, s[0:1]
	v_add_u32_e32 v36, v25, v4
	; wave barrier
	s_and_saveexec_b64 s[0:1], s[2:3]
	s_cbranch_execz .LBB25_163
; %bb.162:
	v_bcnt_u32_b32 v2, v2, 0
	v_bcnt_u32_b32 v2, v3, v2
	s_waitcnt lgkmcnt(0)
	v_add_u32_e32 v2, v32, v2
	ds_write_b32 v36, v2 offset:16
.LBB25_163:
	s_or_b64 exec, exec, s[0:1]
	v_lshrrev_b32_sdwa v2, s68, v14 dst_sel:DWORD dst_unused:UNUSED_PAD src0_sel:DWORD src1_sel:WORD_0
	v_and_b32_e32 v3, s9, v2
	v_mad_u32_u24 v2, v3, 20, v25
	; wave barrier
	ds_read_b32 v35, v2 offset:16
	v_and_b32_e32 v2, 1, v3
	v_add_co_u32_e32 v37, vcc, -1, v2
	v_addc_co_u32_e64 v38, s[0:1], 0, -1, vcc
	v_cmp_ne_u32_e32 vcc, 0, v2
	v_xor_b32_e32 v2, vcc_hi, v38
	v_and_b32_e32 v38, exec_hi, v2
	v_lshlrev_b32_e32 v2, 30, v3
	v_xor_b32_e32 v37, vcc_lo, v37
	v_cmp_gt_i64_e32 vcc, 0, v[1:2]
	v_not_b32_e32 v2, v2
	v_ashrrev_i32_e32 v2, 31, v2
	v_and_b32_e32 v37, exec_lo, v37
	v_xor_b32_e32 v39, vcc_hi, v2
	v_xor_b32_e32 v2, vcc_lo, v2
	v_and_b32_e32 v37, v37, v2
	v_lshlrev_b32_e32 v2, 29, v3
	v_cmp_gt_i64_e32 vcc, 0, v[1:2]
	v_not_b32_e32 v2, v2
	v_ashrrev_i32_e32 v2, 31, v2
	v_and_b32_e32 v38, v38, v39
	v_xor_b32_e32 v39, vcc_hi, v2
	v_xor_b32_e32 v2, vcc_lo, v2
	v_and_b32_e32 v37, v37, v2
	v_lshlrev_b32_e32 v2, 28, v3
	v_cmp_gt_i64_e32 vcc, 0, v[1:2]
	v_not_b32_e32 v2, v2
	v_ashrrev_i32_e32 v2, 31, v2
	v_and_b32_e32 v38, v38, v39
	;; [unrolled: 8-line block ×5, first 2 shown]
	v_xor_b32_e32 v39, vcc_hi, v2
	v_xor_b32_e32 v2, vcc_lo, v2
	v_and_b32_e32 v37, v37, v2
	v_lshlrev_b32_e32 v2, 24, v3
	v_cmp_gt_i64_e32 vcc, 0, v[1:2]
	v_not_b32_e32 v1, v2
	v_ashrrev_i32_e32 v1, 31, v1
	v_xor_b32_e32 v2, vcc_hi, v1
	v_xor_b32_e32 v1, vcc_lo, v1
	v_and_b32_e32 v38, v38, v39
	v_and_b32_e32 v1, v37, v1
	v_mul_u32_u24_e32 v4, 20, v3
	v_and_b32_e32 v2, v38, v2
	v_mbcnt_lo_u32_b32 v3, v1, 0
	v_mbcnt_hi_u32_b32 v37, v2, v3
	v_cmp_ne_u64_e32 vcc, 0, v[1:2]
	v_cmp_eq_u32_e64 s[0:1], 0, v37
	s_and_b64 s[2:3], vcc, s[0:1]
	v_add_u32_e32 v39, v25, v4
	; wave barrier
	s_and_saveexec_b64 s[0:1], s[2:3]
	s_cbranch_execz .LBB25_165
; %bb.164:
	v_bcnt_u32_b32 v1, v1, 0
	v_bcnt_u32_b32 v1, v2, v1
	s_waitcnt lgkmcnt(0)
	v_add_u32_e32 v1, v35, v1
	ds_write_b32 v39, v1 offset:16
.LBB25_165:
	s_or_b64 exec, exec, s[0:1]
	v_lshrrev_b32_sdwa v1, s68, v13 dst_sel:DWORD dst_unused:UNUSED_PAD src0_sel:DWORD src1_sel:WORD_0
	v_and_b32_e32 v3, s9, v1
	v_and_b32_e32 v2, 1, v3
	v_add_co_u32_e32 v40, vcc, -1, v2
	v_addc_co_u32_e64 v41, s[0:1], 0, -1, vcc
	v_cmp_ne_u32_e32 vcc, 0, v2
	v_mad_u32_u24 v1, v3, 20, v25
	v_xor_b32_e32 v2, vcc_hi, v41
	; wave barrier
	ds_read_b32 v38, v1 offset:16
	v_mov_b32_e32 v1, 0
	v_and_b32_e32 v41, exec_hi, v2
	v_lshlrev_b32_e32 v2, 30, v3
	v_xor_b32_e32 v40, vcc_lo, v40
	v_cmp_gt_i64_e32 vcc, 0, v[1:2]
	v_not_b32_e32 v2, v2
	v_ashrrev_i32_e32 v2, 31, v2
	v_and_b32_e32 v40, exec_lo, v40
	v_xor_b32_e32 v42, vcc_hi, v2
	v_xor_b32_e32 v2, vcc_lo, v2
	v_and_b32_e32 v40, v40, v2
	v_lshlrev_b32_e32 v2, 29, v3
	v_cmp_gt_i64_e32 vcc, 0, v[1:2]
	v_not_b32_e32 v2, v2
	v_ashrrev_i32_e32 v2, 31, v2
	v_and_b32_e32 v41, v41, v42
	v_xor_b32_e32 v42, vcc_hi, v2
	v_xor_b32_e32 v2, vcc_lo, v2
	v_and_b32_e32 v40, v40, v2
	v_lshlrev_b32_e32 v2, 28, v3
	v_cmp_gt_i64_e32 vcc, 0, v[1:2]
	v_not_b32_e32 v2, v2
	v_ashrrev_i32_e32 v2, 31, v2
	v_and_b32_e32 v41, v41, v42
	;; [unrolled: 8-line block ×5, first 2 shown]
	v_xor_b32_e32 v42, vcc_hi, v2
	v_xor_b32_e32 v2, vcc_lo, v2
	v_and_b32_e32 v40, v40, v2
	v_lshlrev_b32_e32 v2, 24, v3
	v_cmp_gt_i64_e32 vcc, 0, v[1:2]
	v_not_b32_e32 v2, v2
	v_ashrrev_i32_e32 v2, 31, v2
	v_mul_u32_u24_e32 v4, 20, v3
	v_xor_b32_e32 v3, vcc_hi, v2
	v_xor_b32_e32 v2, vcc_lo, v2
	v_and_b32_e32 v41, v41, v42
	v_and_b32_e32 v2, v40, v2
	;; [unrolled: 1-line block ×3, first 2 shown]
	v_mbcnt_lo_u32_b32 v40, v2, 0
	v_mbcnt_hi_u32_b32 v40, v3, v40
	v_cmp_ne_u64_e32 vcc, 0, v[2:3]
	v_cmp_eq_u32_e64 s[0:1], 0, v40
	s_and_b64 s[2:3], vcc, s[0:1]
	v_add_u32_e32 v42, v25, v4
	; wave barrier
	s_and_saveexec_b64 s[0:1], s[2:3]
	s_cbranch_execz .LBB25_167
; %bb.166:
	v_bcnt_u32_b32 v2, v2, 0
	v_bcnt_u32_b32 v2, v3, v2
	s_waitcnt lgkmcnt(0)
	v_add_u32_e32 v2, v38, v2
	ds_write_b32 v42, v2 offset:16
.LBB25_167:
	s_or_b64 exec, exec, s[0:1]
	v_lshrrev_b32_sdwa v2, s68, v12 dst_sel:DWORD dst_unused:UNUSED_PAD src0_sel:DWORD src1_sel:WORD_0
	v_and_b32_e32 v3, s9, v2
	v_mad_u32_u24 v2, v3, 20, v25
	; wave barrier
	ds_read_b32 v41, v2 offset:16
	v_and_b32_e32 v2, 1, v3
	v_add_co_u32_e32 v43, vcc, -1, v2
	v_addc_co_u32_e64 v44, s[0:1], 0, -1, vcc
	v_cmp_ne_u32_e32 vcc, 0, v2
	v_xor_b32_e32 v2, vcc_hi, v44
	v_and_b32_e32 v44, exec_hi, v2
	v_lshlrev_b32_e32 v2, 30, v3
	v_xor_b32_e32 v43, vcc_lo, v43
	v_cmp_gt_i64_e32 vcc, 0, v[1:2]
	v_not_b32_e32 v2, v2
	v_ashrrev_i32_e32 v2, 31, v2
	v_and_b32_e32 v43, exec_lo, v43
	v_xor_b32_e32 v45, vcc_hi, v2
	v_xor_b32_e32 v2, vcc_lo, v2
	v_and_b32_e32 v43, v43, v2
	v_lshlrev_b32_e32 v2, 29, v3
	v_cmp_gt_i64_e32 vcc, 0, v[1:2]
	v_not_b32_e32 v2, v2
	v_ashrrev_i32_e32 v2, 31, v2
	v_and_b32_e32 v44, v44, v45
	v_xor_b32_e32 v45, vcc_hi, v2
	v_xor_b32_e32 v2, vcc_lo, v2
	v_and_b32_e32 v43, v43, v2
	v_lshlrev_b32_e32 v2, 28, v3
	v_cmp_gt_i64_e32 vcc, 0, v[1:2]
	v_not_b32_e32 v2, v2
	v_ashrrev_i32_e32 v2, 31, v2
	v_and_b32_e32 v44, v44, v45
	;; [unrolled: 8-line block ×5, first 2 shown]
	v_xor_b32_e32 v45, vcc_hi, v2
	v_xor_b32_e32 v2, vcc_lo, v2
	v_and_b32_e32 v43, v43, v2
	v_lshlrev_b32_e32 v2, 24, v3
	v_cmp_gt_i64_e32 vcc, 0, v[1:2]
	v_not_b32_e32 v1, v2
	v_ashrrev_i32_e32 v1, 31, v1
	v_xor_b32_e32 v2, vcc_hi, v1
	v_xor_b32_e32 v1, vcc_lo, v1
	v_and_b32_e32 v44, v44, v45
	v_and_b32_e32 v1, v43, v1
	v_mul_u32_u24_e32 v4, 20, v3
	v_and_b32_e32 v2, v44, v2
	v_mbcnt_lo_u32_b32 v3, v1, 0
	v_mbcnt_hi_u32_b32 v43, v2, v3
	v_cmp_ne_u64_e32 vcc, 0, v[1:2]
	v_cmp_eq_u32_e64 s[0:1], 0, v43
	s_and_b64 s[2:3], vcc, s[0:1]
	v_add_u32_e32 v45, v25, v4
	; wave barrier
	s_and_saveexec_b64 s[0:1], s[2:3]
	s_cbranch_execz .LBB25_169
; %bb.168:
	v_bcnt_u32_b32 v1, v1, 0
	v_bcnt_u32_b32 v1, v2, v1
	s_waitcnt lgkmcnt(0)
	v_add_u32_e32 v1, v41, v1
	ds_write_b32 v45, v1 offset:16
.LBB25_169:
	s_or_b64 exec, exec, s[0:1]
	v_lshrrev_b32_sdwa v1, s68, v11 dst_sel:DWORD dst_unused:UNUSED_PAD src0_sel:DWORD src1_sel:WORD_0
	v_and_b32_e32 v3, s9, v1
	v_and_b32_e32 v2, 1, v3
	v_add_co_u32_e32 v46, vcc, -1, v2
	v_addc_co_u32_e64 v47, s[0:1], 0, -1, vcc
	v_cmp_ne_u32_e32 vcc, 0, v2
	v_mad_u32_u24 v1, v3, 20, v25
	v_xor_b32_e32 v2, vcc_hi, v47
	; wave barrier
	ds_read_b32 v44, v1 offset:16
	v_mov_b32_e32 v1, 0
	v_and_b32_e32 v47, exec_hi, v2
	v_lshlrev_b32_e32 v2, 30, v3
	v_xor_b32_e32 v46, vcc_lo, v46
	v_cmp_gt_i64_e32 vcc, 0, v[1:2]
	v_not_b32_e32 v2, v2
	v_ashrrev_i32_e32 v2, 31, v2
	v_and_b32_e32 v46, exec_lo, v46
	v_xor_b32_e32 v48, vcc_hi, v2
	v_xor_b32_e32 v2, vcc_lo, v2
	v_and_b32_e32 v46, v46, v2
	v_lshlrev_b32_e32 v2, 29, v3
	v_cmp_gt_i64_e32 vcc, 0, v[1:2]
	v_not_b32_e32 v2, v2
	v_ashrrev_i32_e32 v2, 31, v2
	v_and_b32_e32 v47, v47, v48
	v_xor_b32_e32 v48, vcc_hi, v2
	v_xor_b32_e32 v2, vcc_lo, v2
	v_and_b32_e32 v46, v46, v2
	v_lshlrev_b32_e32 v2, 28, v3
	v_cmp_gt_i64_e32 vcc, 0, v[1:2]
	v_not_b32_e32 v2, v2
	v_ashrrev_i32_e32 v2, 31, v2
	v_and_b32_e32 v47, v47, v48
	;; [unrolled: 8-line block ×5, first 2 shown]
	v_xor_b32_e32 v48, vcc_hi, v2
	v_xor_b32_e32 v2, vcc_lo, v2
	v_and_b32_e32 v46, v46, v2
	v_lshlrev_b32_e32 v2, 24, v3
	v_cmp_gt_i64_e32 vcc, 0, v[1:2]
	v_not_b32_e32 v2, v2
	v_ashrrev_i32_e32 v2, 31, v2
	v_mul_u32_u24_e32 v4, 20, v3
	v_xor_b32_e32 v3, vcc_hi, v2
	v_xor_b32_e32 v2, vcc_lo, v2
	v_and_b32_e32 v47, v47, v48
	v_and_b32_e32 v2, v46, v2
	;; [unrolled: 1-line block ×3, first 2 shown]
	v_mbcnt_lo_u32_b32 v46, v2, 0
	v_mbcnt_hi_u32_b32 v46, v3, v46
	v_cmp_ne_u64_e32 vcc, 0, v[2:3]
	v_cmp_eq_u32_e64 s[0:1], 0, v46
	s_and_b64 s[2:3], vcc, s[0:1]
	v_add_u32_e32 v48, v25, v4
	; wave barrier
	s_and_saveexec_b64 s[0:1], s[2:3]
	s_cbranch_execz .LBB25_171
; %bb.170:
	v_bcnt_u32_b32 v2, v2, 0
	v_bcnt_u32_b32 v2, v3, v2
	s_waitcnt lgkmcnt(0)
	v_add_u32_e32 v2, v44, v2
	ds_write_b32 v48, v2 offset:16
.LBB25_171:
	s_or_b64 exec, exec, s[0:1]
	v_lshrrev_b32_sdwa v2, s68, v10 dst_sel:DWORD dst_unused:UNUSED_PAD src0_sel:DWORD src1_sel:WORD_0
	v_and_b32_e32 v3, s9, v2
	v_mad_u32_u24 v2, v3, 20, v25
	; wave barrier
	ds_read_b32 v47, v2 offset:16
	v_and_b32_e32 v2, 1, v3
	v_add_co_u32_e32 v49, vcc, -1, v2
	v_addc_co_u32_e64 v50, s[0:1], 0, -1, vcc
	v_cmp_ne_u32_e32 vcc, 0, v2
	v_xor_b32_e32 v2, vcc_hi, v50
	v_and_b32_e32 v50, exec_hi, v2
	v_lshlrev_b32_e32 v2, 30, v3
	v_xor_b32_e32 v49, vcc_lo, v49
	v_cmp_gt_i64_e32 vcc, 0, v[1:2]
	v_not_b32_e32 v2, v2
	v_ashrrev_i32_e32 v2, 31, v2
	v_and_b32_e32 v49, exec_lo, v49
	v_xor_b32_e32 v51, vcc_hi, v2
	v_xor_b32_e32 v2, vcc_lo, v2
	v_and_b32_e32 v49, v49, v2
	v_lshlrev_b32_e32 v2, 29, v3
	v_cmp_gt_i64_e32 vcc, 0, v[1:2]
	v_not_b32_e32 v2, v2
	v_ashrrev_i32_e32 v2, 31, v2
	v_and_b32_e32 v50, v50, v51
	v_xor_b32_e32 v51, vcc_hi, v2
	v_xor_b32_e32 v2, vcc_lo, v2
	v_and_b32_e32 v49, v49, v2
	v_lshlrev_b32_e32 v2, 28, v3
	v_cmp_gt_i64_e32 vcc, 0, v[1:2]
	v_not_b32_e32 v2, v2
	v_ashrrev_i32_e32 v2, 31, v2
	v_and_b32_e32 v50, v50, v51
	;; [unrolled: 8-line block ×5, first 2 shown]
	v_xor_b32_e32 v51, vcc_hi, v2
	v_xor_b32_e32 v2, vcc_lo, v2
	v_and_b32_e32 v49, v49, v2
	v_lshlrev_b32_e32 v2, 24, v3
	v_cmp_gt_i64_e32 vcc, 0, v[1:2]
	v_not_b32_e32 v1, v2
	v_ashrrev_i32_e32 v1, 31, v1
	v_xor_b32_e32 v2, vcc_hi, v1
	v_xor_b32_e32 v1, vcc_lo, v1
	v_and_b32_e32 v50, v50, v51
	v_and_b32_e32 v1, v49, v1
	v_mul_u32_u24_e32 v4, 20, v3
	v_and_b32_e32 v2, v50, v2
	v_mbcnt_lo_u32_b32 v3, v1, 0
	v_mbcnt_hi_u32_b32 v49, v2, v3
	v_cmp_ne_u64_e32 vcc, 0, v[1:2]
	v_cmp_eq_u32_e64 s[0:1], 0, v49
	s_and_b64 s[2:3], vcc, s[0:1]
	v_add_u32_e32 v51, v25, v4
	; wave barrier
	s_and_saveexec_b64 s[0:1], s[2:3]
	s_cbranch_execz .LBB25_173
; %bb.172:
	v_bcnt_u32_b32 v1, v1, 0
	v_bcnt_u32_b32 v1, v2, v1
	s_waitcnt lgkmcnt(0)
	v_add_u32_e32 v1, v47, v1
	ds_write_b32 v51, v1 offset:16
.LBB25_173:
	s_or_b64 exec, exec, s[0:1]
	v_lshrrev_b32_sdwa v1, s68, v9 dst_sel:DWORD dst_unused:UNUSED_PAD src0_sel:DWORD src1_sel:WORD_0
	v_and_b32_e32 v3, s9, v1
	v_and_b32_e32 v2, 1, v3
	v_add_co_u32_e32 v52, vcc, -1, v2
	v_addc_co_u32_e64 v53, s[0:1], 0, -1, vcc
	v_cmp_ne_u32_e32 vcc, 0, v2
	v_mad_u32_u24 v1, v3, 20, v25
	v_xor_b32_e32 v2, vcc_hi, v53
	; wave barrier
	ds_read_b32 v50, v1 offset:16
	v_mov_b32_e32 v1, 0
	v_and_b32_e32 v53, exec_hi, v2
	v_lshlrev_b32_e32 v2, 30, v3
	v_xor_b32_e32 v52, vcc_lo, v52
	v_cmp_gt_i64_e32 vcc, 0, v[1:2]
	v_not_b32_e32 v2, v2
	v_ashrrev_i32_e32 v2, 31, v2
	v_and_b32_e32 v52, exec_lo, v52
	v_xor_b32_e32 v54, vcc_hi, v2
	v_xor_b32_e32 v2, vcc_lo, v2
	v_and_b32_e32 v52, v52, v2
	v_lshlrev_b32_e32 v2, 29, v3
	v_cmp_gt_i64_e32 vcc, 0, v[1:2]
	v_not_b32_e32 v2, v2
	v_ashrrev_i32_e32 v2, 31, v2
	v_and_b32_e32 v53, v53, v54
	v_xor_b32_e32 v54, vcc_hi, v2
	v_xor_b32_e32 v2, vcc_lo, v2
	v_and_b32_e32 v52, v52, v2
	v_lshlrev_b32_e32 v2, 28, v3
	v_cmp_gt_i64_e32 vcc, 0, v[1:2]
	v_not_b32_e32 v2, v2
	v_ashrrev_i32_e32 v2, 31, v2
	v_and_b32_e32 v53, v53, v54
	v_xor_b32_e32 v54, vcc_hi, v2
	v_xor_b32_e32 v2, vcc_lo, v2
	v_and_b32_e32 v52, v52, v2
	v_lshlrev_b32_e32 v2, 27, v3
	v_cmp_gt_i64_e32 vcc, 0, v[1:2]
	v_not_b32_e32 v2, v2
	v_ashrrev_i32_e32 v2, 31, v2
	v_and_b32_e32 v53, v53, v54
	v_xor_b32_e32 v54, vcc_hi, v2
	v_xor_b32_e32 v2, vcc_lo, v2
	v_and_b32_e32 v52, v52, v2
	v_lshlrev_b32_e32 v2, 26, v3
	v_cmp_gt_i64_e32 vcc, 0, v[1:2]
	v_not_b32_e32 v2, v2
	v_ashrrev_i32_e32 v2, 31, v2
	v_and_b32_e32 v53, v53, v54
	v_xor_b32_e32 v54, vcc_hi, v2
	v_xor_b32_e32 v2, vcc_lo, v2
	v_and_b32_e32 v52, v52, v2
	v_lshlrev_b32_e32 v2, 25, v3
	v_cmp_gt_i64_e32 vcc, 0, v[1:2]
	v_not_b32_e32 v2, v2
	v_ashrrev_i32_e32 v2, 31, v2
	v_and_b32_e32 v53, v53, v54
	v_xor_b32_e32 v54, vcc_hi, v2
	v_xor_b32_e32 v2, vcc_lo, v2
	v_and_b32_e32 v52, v52, v2
	v_lshlrev_b32_e32 v2, 24, v3
	v_cmp_gt_i64_e32 vcc, 0, v[1:2]
	v_not_b32_e32 v2, v2
	v_ashrrev_i32_e32 v2, 31, v2
	v_mul_u32_u24_e32 v4, 20, v3
	v_xor_b32_e32 v3, vcc_hi, v2
	v_xor_b32_e32 v2, vcc_lo, v2
	v_and_b32_e32 v53, v53, v54
	v_and_b32_e32 v2, v52, v2
	;; [unrolled: 1-line block ×3, first 2 shown]
	v_mbcnt_lo_u32_b32 v52, v2, 0
	v_mbcnt_hi_u32_b32 v52, v3, v52
	v_cmp_ne_u64_e32 vcc, 0, v[2:3]
	v_cmp_eq_u32_e64 s[0:1], 0, v52
	s_and_b64 s[2:3], vcc, s[0:1]
	v_add_u32_e32 v54, v25, v4
	; wave barrier
	s_and_saveexec_b64 s[0:1], s[2:3]
	s_cbranch_execz .LBB25_175
; %bb.174:
	v_bcnt_u32_b32 v2, v2, 0
	v_bcnt_u32_b32 v2, v3, v2
	s_waitcnt lgkmcnt(0)
	v_add_u32_e32 v2, v50, v2
	ds_write_b32 v54, v2 offset:16
.LBB25_175:
	s_or_b64 exec, exec, s[0:1]
	v_lshrrev_b32_sdwa v2, s68, v6 dst_sel:DWORD dst_unused:UNUSED_PAD src0_sel:DWORD src1_sel:WORD_0
	v_and_b32_e32 v3, s9, v2
	v_mad_u32_u24 v2, v3, 20, v25
	; wave barrier
	ds_read_b32 v53, v2 offset:16
	v_and_b32_e32 v2, 1, v3
	v_add_co_u32_e32 v55, vcc, -1, v2
	v_addc_co_u32_e64 v56, s[0:1], 0, -1, vcc
	v_cmp_ne_u32_e32 vcc, 0, v2
	v_xor_b32_e32 v2, vcc_hi, v56
	v_and_b32_e32 v56, exec_hi, v2
	v_lshlrev_b32_e32 v2, 30, v3
	v_xor_b32_e32 v55, vcc_lo, v55
	v_cmp_gt_i64_e32 vcc, 0, v[1:2]
	v_not_b32_e32 v2, v2
	v_ashrrev_i32_e32 v2, 31, v2
	v_and_b32_e32 v55, exec_lo, v55
	v_xor_b32_e32 v57, vcc_hi, v2
	v_xor_b32_e32 v2, vcc_lo, v2
	v_and_b32_e32 v55, v55, v2
	v_lshlrev_b32_e32 v2, 29, v3
	v_cmp_gt_i64_e32 vcc, 0, v[1:2]
	v_not_b32_e32 v2, v2
	v_ashrrev_i32_e32 v2, 31, v2
	v_and_b32_e32 v56, v56, v57
	v_xor_b32_e32 v57, vcc_hi, v2
	v_xor_b32_e32 v2, vcc_lo, v2
	v_and_b32_e32 v55, v55, v2
	v_lshlrev_b32_e32 v2, 28, v3
	v_cmp_gt_i64_e32 vcc, 0, v[1:2]
	v_not_b32_e32 v2, v2
	v_ashrrev_i32_e32 v2, 31, v2
	v_and_b32_e32 v56, v56, v57
	;; [unrolled: 8-line block ×5, first 2 shown]
	v_xor_b32_e32 v57, vcc_hi, v2
	v_xor_b32_e32 v2, vcc_lo, v2
	v_and_b32_e32 v55, v55, v2
	v_lshlrev_b32_e32 v2, 24, v3
	v_cmp_gt_i64_e32 vcc, 0, v[1:2]
	v_not_b32_e32 v1, v2
	v_ashrrev_i32_e32 v1, 31, v1
	v_xor_b32_e32 v2, vcc_hi, v1
	v_xor_b32_e32 v1, vcc_lo, v1
	v_and_b32_e32 v56, v56, v57
	v_and_b32_e32 v1, v55, v1
	v_mul_u32_u24_e32 v4, 20, v3
	v_and_b32_e32 v2, v56, v2
	v_mbcnt_lo_u32_b32 v3, v1, 0
	v_mbcnt_hi_u32_b32 v55, v2, v3
	v_cmp_ne_u64_e32 vcc, 0, v[1:2]
	v_cmp_eq_u32_e64 s[0:1], 0, v55
	s_and_b64 s[2:3], vcc, s[0:1]
	v_add_u32_e32 v25, v25, v4
	; wave barrier
	s_and_saveexec_b64 s[0:1], s[2:3]
	s_cbranch_execz .LBB25_177
; %bb.176:
	v_bcnt_u32_b32 v1, v1, 0
	v_bcnt_u32_b32 v1, v2, v1
	s_waitcnt lgkmcnt(0)
	v_add_u32_e32 v1, v53, v1
	ds_write_b32 v25, v1 offset:16
.LBB25_177:
	s_or_b64 exec, exec, s[0:1]
	; wave barrier
	s_waitcnt lgkmcnt(0)
	s_barrier
	ds_read2_b32 v[3:4], v19 offset0:4 offset1:5
	ds_read2_b32 v[1:2], v19 offset0:6 offset1:7
	ds_read_b32 v56, v19 offset:32
	v_min_u32_e32 v20, 0xc0, v20
	v_or_b32_e32 v20, 63, v20
	s_waitcnt lgkmcnt(1)
	v_add3_u32 v57, v4, v3, v1
	s_waitcnt lgkmcnt(0)
	v_add3_u32 v56, v57, v2, v56
	v_and_b32_e32 v57, 15, v8
	v_cmp_ne_u32_e32 vcc, 0, v57
	v_mov_b32_dpp v58, v56 row_shr:1 row_mask:0xf bank_mask:0xf
	v_cndmask_b32_e32 v58, 0, v58, vcc
	v_add_u32_e32 v56, v58, v56
	v_cmp_lt_u32_e32 vcc, 1, v57
	s_nop 0
	v_mov_b32_dpp v58, v56 row_shr:2 row_mask:0xf bank_mask:0xf
	v_cndmask_b32_e32 v58, 0, v58, vcc
	v_add_u32_e32 v56, v56, v58
	v_cmp_lt_u32_e32 vcc, 3, v57
	s_nop 0
	;; [unrolled: 5-line block ×3, first 2 shown]
	v_mov_b32_dpp v58, v56 row_shr:8 row_mask:0xf bank_mask:0xf
	v_cndmask_b32_e32 v57, 0, v58, vcc
	v_add_u32_e32 v56, v56, v57
	v_bfe_i32 v58, v8, 4, 1
	v_cmp_lt_u32_e32 vcc, 31, v8
	v_mov_b32_dpp v57, v56 row_bcast:15 row_mask:0xf bank_mask:0xf
	v_and_b32_e32 v57, v58, v57
	v_add_u32_e32 v56, v56, v57
	s_nop 1
	v_mov_b32_dpp v57, v56 row_bcast:31 row_mask:0xf bank_mask:0xf
	v_cndmask_b32_e32 v57, 0, v57, vcc
	v_add_u32_e32 v56, v56, v57
	v_lshrrev_b32_e32 v57, 6, v0
	v_cmp_eq_u32_e32 vcc, v0, v20
	s_and_saveexec_b64 s[0:1], vcc
; %bb.178:
	v_lshlrev_b32_e32 v20, 2, v57
	ds_write_b32 v20, v56
; %bb.179:
	s_or_b64 exec, exec, s[0:1]
	v_cmp_gt_u32_e32 vcc, 4, v0
	s_waitcnt lgkmcnt(0)
	s_barrier
	s_and_saveexec_b64 s[0:1], vcc
	s_cbranch_execz .LBB25_181
; %bb.180:
	v_lshlrev_b32_e32 v20, 2, v0
	ds_read_b32 v58, v20
	v_and_b32_e32 v59, 3, v8
	v_cmp_ne_u32_e32 vcc, 0, v59
	s_waitcnt lgkmcnt(0)
	v_mov_b32_dpp v60, v58 row_shr:1 row_mask:0xf bank_mask:0xf
	v_cndmask_b32_e32 v60, 0, v60, vcc
	v_add_u32_e32 v58, v60, v58
	v_cmp_lt_u32_e32 vcc, 1, v59
	s_nop 0
	v_mov_b32_dpp v60, v58 row_shr:2 row_mask:0xf bank_mask:0xf
	v_cndmask_b32_e32 v59, 0, v60, vcc
	v_add_u32_e32 v58, v58, v59
	ds_write_b32 v20, v58
.LBB25_181:
	s_or_b64 exec, exec, s[0:1]
	v_cmp_lt_u32_e32 vcc, 63, v0
	v_mov_b32_e32 v20, 0
	s_waitcnt lgkmcnt(0)
	s_barrier
	s_and_saveexec_b64 s[0:1], vcc
; %bb.182:
	v_lshl_add_u32 v20, v57, 2, -4
	ds_read_b32 v20, v20
; %bb.183:
	s_or_b64 exec, exec, s[0:1]
	v_add_u32_e32 v57, -1, v8
	v_and_b32_e32 v58, 64, v8
	v_cmp_lt_i32_e32 vcc, v57, v58
	v_cndmask_b32_e32 v57, v57, v8, vcc
	s_waitcnt lgkmcnt(0)
	v_add_u32_e32 v56, v20, v56
	v_lshlrev_b32_e32 v57, 2, v57
	ds_bpermute_b32 v56, v57, v56
	v_cmp_eq_u32_e32 vcc, 0, v8
	s_movk_i32 s0, 0x100
	s_waitcnt lgkmcnt(0)
	v_cndmask_b32_e32 v20, v56, v20, vcc
	v_cmp_ne_u32_e32 vcc, 0, v0
	v_cndmask_b32_e32 v20, 0, v20, vcc
	v_add_u32_e32 v3, v20, v3
	v_add_u32_e32 v4, v3, v4
	;; [unrolled: 1-line block ×4, first 2 shown]
	ds_write2_b32 v19, v20, v3 offset0:4 offset1:5
	ds_write2_b32 v19, v4, v1 offset0:6 offset1:7
	ds_write_b32 v19, v2 offset:32
	s_waitcnt lgkmcnt(0)
	s_barrier
	ds_read_b32 v2, v23 offset:16
	ds_read_b32 v3, v27 offset:16
	;; [unrolled: 1-line block ×13, first 2 shown]
	v_add_u32_e32 v25, 1, v0
	v_cmp_ne_u32_e32 vcc, s0, v25
	v_mov_b32_e32 v1, 0xc00
	s_and_saveexec_b64 s[0:1], vcc
; %bb.184:
	v_mul_u32_u24_e32 v1, 20, v25
	ds_read_b32 v1, v1 offset:16
; %bb.185:
	s_or_b64 exec, exec, s[0:1]
	s_waitcnt lgkmcnt(12)
	v_add_u32_e32 v36, v2, v21
	s_waitcnt lgkmcnt(11)
	v_add3_u32 v33, v24, v22, v3
	v_lshlrev_b32_e32 v2, 1, v36
	s_waitcnt lgkmcnt(10)
	v_add3_u32 v30, v28, v26, v4
	s_waitcnt lgkmcnt(0)
	s_barrier
	ds_write_b16 v2, v5 offset:2048
	v_lshlrev_b32_e32 v2, 1, v33
	v_add3_u32 v28, v31, v29, v20
	ds_write_b16 v2, v18 offset:2048
	v_lshlrev_b32_e32 v2, 1, v30
	v_add3_u32 v27, v34, v32, v23
	;; [unrolled: 3-line block ×9, first 2 shown]
	ds_write_b16 v2, v10 offset:2048
	v_lshlrev_b32_e32 v2, 1, v21
	ds_write_b16 v2, v9 offset:2048
	v_lshlrev_b32_e32 v2, 1, v20
	ds_write_b16 v2, v6 offset:2048
	v_sub_u32_e32 v9, v1, v19
	v_lshl_or_b32 v1, s6, 8, v0
	v_mov_b32_e32 v2, 0
	v_lshlrev_b64 v[3:4], 2, v[1:2]
	v_mov_b32_e32 v10, s73
	v_add_co_u32_e32 v3, vcc, s72, v3
	v_addc_co_u32_e32 v4, vcc, v10, v4, vcc
	v_or_b32_e32 v1, 2.0, v9
	s_mov_b64 s[0:1], 0
	s_brev_b32 s10, -4
	v_mov_b32_e32 v11, 0
	s_waitcnt lgkmcnt(0)
	s_barrier
	global_store_dword v[3:4], v1, off
                                        ; implicit-def: $sgpr2_sgpr3
	s_branch .LBB25_188
.LBB25_186:                             ;   in Loop: Header=BB25_188 Depth=1
	s_or_b64 exec, exec, s[4:5]
.LBB25_187:                             ;   in Loop: Header=BB25_188 Depth=1
	s_or_b64 exec, exec, s[2:3]
	v_and_b32_e32 v5, 0x3fffffff, v1
	v_add_u32_e32 v11, v5, v11
	v_cmp_gt_i32_e64 s[2:3], -2.0, v1
	s_and_b64 s[4:5], exec, s[2:3]
	s_or_b64 s[0:1], s[4:5], s[0:1]
	s_andn2_b64 exec, exec, s[0:1]
	s_cbranch_execz .LBB25_193
.LBB25_188:                             ; =>This Loop Header: Depth=1
                                        ;     Child Loop BB25_191 Depth 2
	s_or_b64 s[2:3], s[2:3], exec
	s_cmp_eq_u32 s7, 0
	s_cbranch_scc1 .LBB25_192
; %bb.189:                              ;   in Loop: Header=BB25_188 Depth=1
	s_add_i32 s7, s7, -1
	v_lshl_or_b32 v1, s7, 8, v0
	v_lshlrev_b64 v[5:6], 2, v[1:2]
	v_add_co_u32_e32 v5, vcc, s72, v5
	v_addc_co_u32_e32 v6, vcc, v10, v6, vcc
	global_load_dword v1, v[5:6], off glc
	s_waitcnt vmcnt(0)
	v_cmp_gt_u32_e32 vcc, 2.0, v1
	s_and_saveexec_b64 s[2:3], vcc
	s_cbranch_execz .LBB25_187
; %bb.190:                              ;   in Loop: Header=BB25_188 Depth=1
	s_mov_b64 s[4:5], 0
.LBB25_191:                             ;   Parent Loop BB25_188 Depth=1
                                        ; =>  This Inner Loop Header: Depth=2
	global_load_dword v1, v[5:6], off glc
	s_waitcnt vmcnt(0)
	v_cmp_lt_u32_e32 vcc, s10, v1
	s_or_b64 s[4:5], vcc, s[4:5]
	s_andn2_b64 exec, exec, s[4:5]
	s_cbranch_execnz .LBB25_191
	s_branch .LBB25_186
.LBB25_192:                             ;   in Loop: Header=BB25_188 Depth=1
                                        ; implicit-def: $sgpr7
	s_and_b64 s[4:5], exec, s[2:3]
	s_or_b64 s[0:1], s[4:5], s[0:1]
	s_andn2_b64 exec, exec, s[0:1]
	s_cbranch_execnz .LBB25_188
.LBB25_193:
	s_or_b64 exec, exec, s[0:1]
	v_add_u32_e32 v2, v11, v9
	v_or_b32_e32 v2, 0x80000000, v2
	v_lshlrev_b32_e32 v1, 3, v0
	global_store_dword v[3:4], v2, off
	global_load_dwordx2 v[2:3], v1, s[64:65]
	v_sub_co_u32_e32 v4, vcc, v11, v19
	v_subb_co_u32_e64 v5, s[0:1], 0, 0, vcc
	v_mad_i32_i24 v49, v0, -6, v1
	v_mov_b32_e32 v6, s59
	v_mov_b32_e32 v17, s59
	;; [unrolled: 1-line block ×5, first 2 shown]
	v_lshlrev_b32_e32 v16, 1, v0
	s_lshl_b64 s[0:1], s[54:55], 3
	s_add_u32 s0, s60, s0
	s_addc_u32 s1, s61, s1
	v_or_b32_e32 v60, 0x800, v0
	v_lshlrev_b32_e32 v47, 1, v60
	v_mov_b32_e32 v64, s59
	s_add_i32 s8, s8, -1
	s_cmp_lg_u32 s6, s8
	s_waitcnt vmcnt(0)
	v_add_co_u32_e32 v2, vcc, v4, v2
	v_addc_co_u32_e32 v3, vcc, v5, v3, vcc
	ds_write_b64 v1, v[2:3]
	s_waitcnt lgkmcnt(0)
	s_barrier
	ds_read_u16 v32, v49 offset:2048
	ds_read_u16 v34, v49 offset:2560
	;; [unrolled: 1-line block ×8, first 2 shown]
	s_waitcnt lgkmcnt(6)
	v_lshrrev_b32_sdwa v3, s68, v34 dst_sel:DWORD dst_unused:UNUSED_PAD src0_sel:DWORD src1_sel:WORD_0
	v_lshrrev_b32_sdwa v2, s68, v32 dst_sel:DWORD dst_unused:UNUSED_PAD src0_sel:DWORD src1_sel:WORD_0
	s_waitcnt lgkmcnt(5)
	v_lshrrev_b32_sdwa v4, s68, v35 dst_sel:DWORD dst_unused:UNUSED_PAD src0_sel:DWORD src1_sel:WORD_0
	s_waitcnt lgkmcnt(4)
	;; [unrolled: 2-line block ×3, first 2 shown]
	v_lshrrev_b32_sdwa v10, s68, v38 dst_sel:DWORD dst_unused:UNUSED_PAD src0_sel:DWORD src1_sel:WORD_0
	v_and_b32_e32 v3, s9, v3
	v_and_b32_e32 v2, s9, v2
	;; [unrolled: 1-line block ×5, first 2 shown]
	v_lshlrev_b32_e32 v51, 3, v3
	v_lshlrev_b32_e32 v50, 3, v2
	;; [unrolled: 1-line block ×5, first 2 shown]
	ds_read_b64 v[2:3], v51
	ds_read_b64 v[4:5], v52
	;; [unrolled: 1-line block ×5, first 2 shown]
	ds_read_u16 v45, v49 offset:6144
	ds_read_u16 v55, v49 offset:6656
	;; [unrolled: 1-line block ×4, first 2 shown]
	s_waitcnt lgkmcnt(4)
	v_lshlrev_b64 v[14:15], 1, v[14:15]
	v_lshlrev_b64 v[2:3], 1, v[2:3]
	v_add_co_u32_e32 v14, vcc, s58, v14
	v_addc_co_u32_e32 v6, vcc, v6, v15, vcc
	v_lshlrev_b64 v[4:5], 1, v[4:5]
	v_add_co_u32_e32 v15, vcc, s58, v2
	v_addc_co_u32_e32 v17, vcc, v17, v3, vcc
	;; [unrolled: 3-line block ×4, first 2 shown]
	v_add_co_u32_e32 v44, vcc, s58, v12
	v_addc_co_u32_e32 v31, vcc, v31, v13, vcc
	v_add_co_u32_e32 v2, vcc, v14, v16
	v_addc_co_u32_e32 v3, vcc, 0, v6, vcc
	;; [unrolled: 2-line block ×5, first 2 shown]
	global_store_short v[2:3], v32, off
	global_store_short v[4:5], v34, off offset:512
	global_store_short v[10:11], v35, off offset:1024
	;; [unrolled: 1-line block ×3, first 2 shown]
	v_add_co_u32_e32 v2, vcc, v44, v16
	v_addc_co_u32_e32 v3, vcc, 0, v31, vcc
	global_store_short v[2:3], v38, off offset:2048
	v_lshrrev_b32_sdwa v2, s68, v39 dst_sel:DWORD dst_unused:UNUSED_PAD src0_sel:DWORD src1_sel:WORD_0
	v_and_b32_e32 v2, s9, v2
	v_lshlrev_b32_e32 v18, 3, v2
	ds_read_b64 v[2:3], v18
	v_lshrrev_b32_sdwa v4, s68, v40 dst_sel:DWORD dst_unused:UNUSED_PAD src0_sel:DWORD src1_sel:WORD_0
	v_and_b32_e32 v4, s9, v4
	v_lshlrev_b32_e32 v29, 3, v4
	v_lshrrev_b32_sdwa v4, s68, v41 dst_sel:DWORD dst_unused:UNUSED_PAD src0_sel:DWORD src1_sel:WORD_0
	v_and_b32_e32 v4, s9, v4
	s_waitcnt lgkmcnt(0)
	v_lshlrev_b64 v[2:3], 1, v[2:3]
	v_lshlrev_b32_e32 v58, 3, v4
	v_lshrrev_b32_sdwa v4, s68, v45 dst_sel:DWORD dst_unused:UNUSED_PAD src0_sel:DWORD src1_sel:WORD_0
	v_and_b32_e32 v4, s9, v4
	v_mov_b32_e32 v6, s59
	v_add_co_u32_e32 v2, vcc, s58, v2
	v_lshlrev_b32_e32 v59, 3, v4
	ds_read_b64 v[4:5], v29
	ds_read_b64 v[10:11], v58
	;; [unrolled: 1-line block ×3, first 2 shown]
	v_addc_co_u32_e32 v3, vcc, v6, v3, vcc
	v_add_co_u32_e32 v2, vcc, v2, v16
	v_addc_co_u32_e32 v3, vcc, 0, v3, vcc
	global_store_short v[2:3], v39, off offset:2560
	s_waitcnt lgkmcnt(2)
	v_lshlrev_b64 v[2:3], 1, v[4:5]
	v_mov_b32_e32 v4, s59
	v_add_co_u32_e32 v2, vcc, s58, v2
	v_addc_co_u32_e32 v3, vcc, v4, v3, vcc
	v_add_co_u32_e32 v2, vcc, v2, v16
	v_addc_co_u32_e32 v3, vcc, 0, v3, vcc
	global_store_short v[2:3], v40, off offset:3072
	s_waitcnt lgkmcnt(1)
	v_lshlrev_b64 v[2:3], 1, v[10:11]
	v_mov_b32_e32 v5, s1
	v_add_co_u32_e32 v2, vcc, s58, v2
	v_addc_co_u32_e32 v3, vcc, v4, v3, vcc
	v_add_co_u32_e32 v2, vcc, v2, v16
	v_addc_co_u32_e32 v3, vcc, 0, v3, vcc
	v_lshlrev_b32_e32 v4, 3, v8
	v_add_co_u32_e32 v4, vcc, s0, v4
	v_addc_co_u32_e32 v5, vcc, 0, v5, vcc
	v_lshlrev_b32_e32 v6, 3, v7
	global_store_short v[2:3], v41, off offset:3584
	s_waitcnt lgkmcnt(0)
	v_lshlrev_b64 v[2:3], 1, v[12:13]
	v_add_co_u32_e32 v4, vcc, v4, v6
	v_addc_co_u32_e32 v5, vcc, 0, v5, vcc
	v_mov_b32_e32 v12, s59
	global_load_dwordx2 v[6:7], v[4:5], off
	global_load_dwordx2 v[10:11], v[4:5], off offset:512
	v_add_co_u32_e32 v8, vcc, s58, v2
	v_addc_co_u32_e32 v46, vcc, v12, v3, vcc
	global_load_dwordx2 v[2:3], v[4:5], off offset:1024
	global_load_dwordx2 v[12:13], v[4:5], off offset:1536
	;; [unrolled: 1-line block ×6, first 2 shown]
	s_movk_i32 s0, 0x1000
	v_add_co_u32_e32 v4, vcc, s0, v4
	v_addc_co_u32_e32 v5, vcc, 0, v5, vcc
	global_load_dwordx2 v[37:38], v[4:5], off
	global_load_dwordx2 v[39:40], v[4:5], off offset:512
	global_load_dwordx2 v[41:42], v[4:5], off offset:1024
	;; [unrolled: 1-line block ×3, first 2 shown]
	v_add_co_u32_e32 v4, vcc, v8, v47
	v_addc_co_u32_e32 v5, vcc, 0, v46, vcc
	global_store_short v[4:5], v45, off
	v_lshrrev_b32_sdwa v4, s68, v55 dst_sel:DWORD dst_unused:UNUSED_PAD src0_sel:DWORD src1_sel:WORD_0
	v_and_b32_e32 v4, s9, v4
	v_lshlrev_b32_e32 v61, 3, v4
	ds_read_b64 v[4:5], v61
	v_lshrrev_b32_sdwa v45, s68, v56 dst_sel:DWORD dst_unused:UNUSED_PAD src0_sel:DWORD src1_sel:WORD_0
	v_and_b32_e32 v45, s9, v45
	v_lshlrev_b32_e32 v62, 3, v45
	v_lshrrev_b32_sdwa v45, s68, v57 dst_sel:DWORD dst_unused:UNUSED_PAD src0_sel:DWORD src1_sel:WORD_0
	s_waitcnt lgkmcnt(0)
	v_lshlrev_b64 v[4:5], 1, v[4:5]
	v_and_b32_e32 v45, s9, v45
	v_or_b32_e32 v8, 0x900, v0
	v_lshlrev_b32_e32 v63, 3, v45
	ds_read_b64 v[45:46], v62
	ds_read_b64 v[47:48], v63
	v_add_co_u32_e32 v4, vcc, s58, v4
	v_addc_co_u32_e32 v5, vcc, v64, v5, vcc
	v_lshlrev_b32_e32 v64, 1, v8
	v_add_co_u32_e32 v4, vcc, v4, v64
	v_addc_co_u32_e32 v5, vcc, 0, v5, vcc
	global_store_short v[4:5], v55, off
	s_waitcnt lgkmcnt(1)
	v_lshlrev_b64 v[4:5], 1, v[45:46]
	v_or_b32_e32 v55, 0xa00, v0
	v_mov_b32_e32 v45, s59
	v_add_co_u32_e32 v4, vcc, s58, v4
	v_addc_co_u32_e32 v5, vcc, v45, v5, vcc
	v_lshlrev_b32_e32 v45, 1, v55
	v_add_co_u32_e32 v4, vcc, v4, v45
	v_addc_co_u32_e32 v5, vcc, 0, v5, vcc
	global_store_short v[4:5], v56, off
	s_waitcnt lgkmcnt(0)
	v_lshlrev_b64 v[4:5], 1, v[47:48]
	v_or_b32_e32 v45, 0xb00, v0
	v_mov_b32_e32 v46, s59
	v_add_co_u32_e32 v4, vcc, s58, v4
	v_addc_co_u32_e32 v5, vcc, v46, v5, vcc
	v_lshlrev_b32_e32 v46, 1, v45
	v_add_co_u32_e32 v4, vcc, v4, v46
	v_addc_co_u32_e32 v5, vcc, 0, v5, vcc
	global_store_short v[4:5], v57, off
	v_lshlrev_b32_e32 v4, 3, v36
	s_waitcnt vmcnt(0)
	s_barrier
	v_mad_u32_u24 v0, v0, 6, v49
	ds_write_b64 v4, v[6:7] offset:2048
	v_lshlrev_b32_e32 v4, 3, v33
	ds_write_b64 v4, v[10:11] offset:2048
	v_lshlrev_b32_e32 v4, 3, v30
	ds_write_b64 v4, v[2:3] offset:2048
	v_lshlrev_b32_e32 v2, 3, v28
	ds_write_b64 v2, v[12:13] offset:2048
	v_lshlrev_b32_e32 v2, 3, v27
	ds_write_b64 v2, v[14:15] offset:2048
	v_lshlrev_b32_e32 v2, 3, v26
	ds_write_b64 v2, v[16:17] offset:2048
	v_lshlrev_b32_e32 v2, 3, v25
	ds_write_b64 v2, v[31:32] offset:2048
	v_lshlrev_b32_e32 v2, 3, v24
	ds_write_b64 v2, v[34:35] offset:2048
	v_lshlrev_b32_e32 v2, 3, v23
	ds_write_b64 v2, v[37:38] offset:2048
	v_lshlrev_b32_e32 v2, 3, v22
	ds_write_b64 v2, v[39:40] offset:2048
	v_lshlrev_b32_e32 v2, 3, v21
	ds_write_b64 v2, v[41:42] offset:2048
	v_lshlrev_b32_e32 v2, 3, v20
	ds_write_b64 v2, v[43:44] offset:2048
	s_waitcnt lgkmcnt(0)
	s_barrier
	ds_read_b64 v[6:7], v50
	ds_read2st64_b64 v[2:5], v0 offset0:4 offset1:8
	ds_read_b64 v[10:11], v51
	ds_read_b64 v[12:13], v52
	;; [unrolled: 1-line block ×3, first 2 shown]
	s_waitcnt lgkmcnt(4)
	v_lshlrev_b64 v[6:7], 3, v[6:7]
	v_mov_b32_e32 v16, s63
	v_add_co_u32_e32 v6, vcc, s62, v6
	v_addc_co_u32_e32 v7, vcc, v16, v7, vcc
	v_add_co_u32_e32 v6, vcc, v6, v1
	v_addc_co_u32_e32 v7, vcc, 0, v7, vcc
	s_waitcnt lgkmcnt(3)
	global_store_dwordx2 v[6:7], v[2:3], off
	s_waitcnt lgkmcnt(2)
	v_lshlrev_b64 v[2:3], 3, v[10:11]
	v_mov_b32_e32 v6, s63
	v_add_co_u32_e32 v2, vcc, s62, v2
	v_addc_co_u32_e32 v3, vcc, v6, v3, vcc
	v_add_co_u32_e32 v2, vcc, v2, v1
	v_addc_co_u32_e32 v3, vcc, 0, v3, vcc
	s_waitcnt lgkmcnt(1)
	v_lshlrev_b64 v[6:7], 3, v[12:13]
	global_store_dwordx2 v[2:3], v[4:5], off offset:2048
	ds_read2st64_b64 v[2:5], v0 offset0:12 offset1:16
	v_mov_b32_e32 v10, s63
	v_add_co_u32_e32 v6, vcc, s62, v6
	v_addc_co_u32_e32 v7, vcc, v10, v7, vcc
	v_or_b32_e32 v10, 0x1000, v1
	v_add_co_u32_e32 v6, vcc, v6, v10
	v_addc_co_u32_e32 v7, vcc, 0, v7, vcc
	s_waitcnt lgkmcnt(0)
	global_store_dwordx2 v[6:7], v[2:3], off
	v_lshlrev_b64 v[2:3], 3, v[14:15]
	v_mov_b32_e32 v6, s63
	v_add_co_u32_e32 v2, vcc, s62, v2
	v_addc_co_u32_e32 v3, vcc, v6, v3, vcc
	v_or_b32_e32 v6, 0x1800, v1
	v_add_co_u32_e32 v2, vcc, v2, v6
	v_addc_co_u32_e32 v3, vcc, 0, v3, vcc
	global_store_dwordx2 v[2:3], v[4:5], off
	ds_read_b64 v[6:7], v54
	ds_read2st64_b64 v[2:5], v0 offset0:20 offset1:24
	ds_read_b64 v[10:11], v18
	ds_read_b64 v[12:13], v29
	;; [unrolled: 1-line block ×3, first 2 shown]
	s_waitcnt lgkmcnt(4)
	v_lshlrev_b64 v[6:7], 3, v[6:7]
	v_add_co_u32_e32 v6, vcc, s62, v6
	v_addc_co_u32_e32 v7, vcc, v16, v7, vcc
	v_or_b32_e32 v16, 0x2000, v1
	v_add_co_u32_e32 v6, vcc, v6, v16
	v_addc_co_u32_e32 v7, vcc, 0, v7, vcc
	s_waitcnt lgkmcnt(3)
	global_store_dwordx2 v[6:7], v[2:3], off
	s_waitcnt lgkmcnt(2)
	v_lshlrev_b64 v[2:3], 3, v[10:11]
	v_mov_b32_e32 v6, s63
	v_add_co_u32_e32 v2, vcc, s62, v2
	v_addc_co_u32_e32 v3, vcc, v6, v3, vcc
	v_or_b32_e32 v6, 0x2800, v1
	v_add_co_u32_e32 v2, vcc, v2, v6
	v_addc_co_u32_e32 v3, vcc, 0, v3, vcc
	s_waitcnt lgkmcnt(1)
	v_lshlrev_b64 v[6:7], 3, v[12:13]
	global_store_dwordx2 v[2:3], v[4:5], off
	ds_read2st64_b64 v[2:5], v0 offset0:28 offset1:32
	v_mov_b32_e32 v10, s63
	v_add_co_u32_e32 v6, vcc, s62, v6
	v_addc_co_u32_e32 v7, vcc, v10, v7, vcc
	v_or_b32_e32 v10, 0x3000, v1
	v_add_co_u32_e32 v6, vcc, v6, v10
	v_addc_co_u32_e32 v7, vcc, 0, v7, vcc
	s_waitcnt lgkmcnt(0)
	global_store_dwordx2 v[6:7], v[2:3], off
	v_lshlrev_b64 v[2:3], 3, v[14:15]
	v_mov_b32_e32 v6, s63
	v_add_co_u32_e32 v2, vcc, s62, v2
	v_addc_co_u32_e32 v3, vcc, v6, v3, vcc
	v_or_b32_e32 v6, 0x3800, v1
	v_add_co_u32_e32 v2, vcc, v2, v6
	v_addc_co_u32_e32 v3, vcc, 0, v3, vcc
	global_store_dwordx2 v[2:3], v[4:5], off
	ds_read_b64 v[6:7], v59
	ds_read2st64_b64 v[2:5], v0 offset0:36 offset1:40
	ds_read_b64 v[10:11], v61
	ds_read_b64 v[12:13], v62
	;; [unrolled: 1-line block ×3, first 2 shown]
	s_waitcnt lgkmcnt(4)
	v_lshlrev_b64 v[6:7], 3, v[6:7]
	v_mov_b32_e32 v16, s63
	v_add_co_u32_e32 v6, vcc, s62, v6
	v_addc_co_u32_e32 v7, vcc, v16, v7, vcc
	v_lshlrev_b32_e32 v16, 3, v60
	v_add_co_u32_e32 v6, vcc, v6, v16
	v_addc_co_u32_e32 v7, vcc, 0, v7, vcc
	s_waitcnt lgkmcnt(3)
	global_store_dwordx2 v[6:7], v[2:3], off
	s_waitcnt lgkmcnt(2)
	v_lshlrev_b64 v[2:3], 3, v[10:11]
	v_mov_b32_e32 v6, s63
	v_add_co_u32_e32 v2, vcc, s62, v2
	v_addc_co_u32_e32 v3, vcc, v6, v3, vcc
	v_lshlrev_b32_e32 v6, 3, v8
	v_add_co_u32_e32 v2, vcc, v2, v6
	v_addc_co_u32_e32 v3, vcc, 0, v3, vcc
	s_waitcnt lgkmcnt(1)
	v_lshlrev_b64 v[6:7], 3, v[12:13]
	global_store_dwordx2 v[2:3], v[4:5], off
	ds_read2st64_b64 v[2:5], v0 offset0:44 offset1:48
	v_mov_b32_e32 v0, s63
	v_add_co_u32_e32 v6, vcc, s62, v6
	v_addc_co_u32_e32 v0, vcc, v0, v7, vcc
	v_lshlrev_b32_e32 v7, 3, v55
	v_add_co_u32_e32 v6, vcc, v6, v7
	v_addc_co_u32_e32 v7, vcc, 0, v0, vcc
	s_waitcnt lgkmcnt(0)
	global_store_dwordx2 v[6:7], v[2:3], off
	v_lshlrev_b64 v[2:3], 3, v[14:15]
	v_mov_b32_e32 v0, s63
	v_add_co_u32_e32 v2, vcc, s62, v2
	v_addc_co_u32_e32 v0, vcc, v0, v3, vcc
	v_lshlrev_b32_e32 v3, 3, v45
	v_add_co_u32_e32 v2, vcc, v2, v3
	v_addc_co_u32_e32 v3, vcc, 0, v0, vcc
	global_store_dwordx2 v[2:3], v[4:5], off
	s_cbranch_scc1 .LBB25_195
; %bb.194:
	ds_read_b64 v[2:3], v1
	v_add_co_u32_e32 v0, vcc, v9, v19
	v_addc_co_u32_e64 v4, s[0:1], 0, 0, vcc
	s_waitcnt lgkmcnt(0)
	v_add_co_u32_e32 v2, vcc, v0, v2
	v_addc_co_u32_e32 v3, vcc, v4, v3, vcc
	global_store_dwordx2 v1, v[2:3], s[66:67]
.LBB25_195:
	s_endpgm
.LBB25_196:
	s_or_b64 exec, exec, s[0:1]
	s_and_saveexec_b64 s[0:1], s[26:27]
	s_cbranch_execz .LBB25_139
.LBB25_197:
	v_lshlrev_b32_e32 v3, 3, v62
	ds_read_b64 v[3:4], v3
	ds_read_b64 v[5:6], v32 offset:4096
	v_mov_b32_e32 v7, s63
	s_waitcnt lgkmcnt(1)
	v_lshlrev_b64 v[3:4], 3, v[3:4]
	v_add_co_u32_e32 v3, vcc, s62, v3
	v_addc_co_u32_e32 v4, vcc, v7, v4, vcc
	v_add_co_u32_e32 v3, vcc, v3, v32
	v_addc_co_u32_e32 v4, vcc, 0, v4, vcc
	s_waitcnt lgkmcnt(0)
	global_store_dwordx2 v[3:4], v[5:6], off offset:2048
	s_or_b64 exec, exec, s[0:1]
	s_and_saveexec_b64 s[0:1], s[28:29]
	s_cbranch_execnz .LBB25_140
.LBB25_198:
	s_or_b64 exec, exec, s[0:1]
	s_and_saveexec_b64 s[0:1], s[30:31]
	s_cbranch_execz .LBB25_141
.LBB25_199:
	v_lshlrev_b32_e32 v3, 3, v60
	ds_read_b64 v[3:4], v3
	ds_read_b64 v[5:6], v32 offset:8192
	v_mov_b32_e32 v7, s63
	s_waitcnt lgkmcnt(1)
	v_lshlrev_b64 v[3:4], 3, v[3:4]
	v_add_co_u32_e32 v3, vcc, s62, v3
	v_addc_co_u32_e32 v4, vcc, v7, v4, vcc
	v_lshlrev_b32_e32 v7, 3, v42
	v_add_co_u32_e32 v3, vcc, v3, v7
	v_addc_co_u32_e32 v4, vcc, 0, v4, vcc
	s_waitcnt lgkmcnt(0)
	global_store_dwordx2 v[3:4], v[5:6], off
	s_or_b64 exec, exec, s[0:1]
	s_and_saveexec_b64 s[0:1], s[34:35]
	s_cbranch_execnz .LBB25_142
.LBB25_200:
	s_or_b64 exec, exec, s[0:1]
	s_and_saveexec_b64 s[0:1], s[36:37]
	s_cbranch_execz .LBB25_143
.LBB25_201:
	v_lshlrev_b32_e32 v3, 3, v58
	ds_read_b64 v[3:4], v3
	ds_read_b64 v[5:6], v32 offset:12288
	v_mov_b32_e32 v7, s63
	s_waitcnt lgkmcnt(1)
	v_lshlrev_b64 v[3:4], 3, v[3:4]
	v_add_co_u32_e32 v3, vcc, s62, v3
	v_addc_co_u32_e32 v4, vcc, v7, v4, vcc
	v_lshlrev_b32_e32 v7, 3, v48
	v_add_co_u32_e32 v3, vcc, v3, v7
	v_addc_co_u32_e32 v4, vcc, 0, v4, vcc
	s_waitcnt lgkmcnt(0)
	global_store_dwordx2 v[3:4], v[5:6], off
	s_or_b64 exec, exec, s[0:1]
	s_and_saveexec_b64 s[0:1], s[38:39]
	s_cbranch_execnz .LBB25_144
.LBB25_202:
	s_or_b64 exec, exec, s[0:1]
	s_and_saveexec_b64 s[0:1], s[40:41]
	s_cbranch_execz .LBB25_145
.LBB25_203:
	v_lshlrev_b32_e32 v3, 3, v56
	ds_read_b64 v[3:4], v3
	ds_read_b64 v[5:6], v32 offset:16384
	v_mov_b32_e32 v7, s63
	s_waitcnt lgkmcnt(1)
	v_lshlrev_b64 v[3:4], 3, v[3:4]
	v_add_co_u32_e32 v3, vcc, s62, v3
	v_addc_co_u32_e32 v4, vcc, v7, v4, vcc
	v_lshlrev_b32_e32 v7, 3, v50
	v_add_co_u32_e32 v3, vcc, v3, v7
	v_addc_co_u32_e32 v4, vcc, 0, v4, vcc
	s_waitcnt lgkmcnt(0)
	global_store_dwordx2 v[3:4], v[5:6], off
	s_or_b64 exec, exec, s[0:1]
	s_and_saveexec_b64 s[0:1], s[42:43]
	s_cbranch_execnz .LBB25_146
.LBB25_204:
	s_or_b64 exec, exec, s[0:1]
	s_and_saveexec_b64 s[0:1], s[44:45]
	s_cbranch_execz .LBB25_147
.LBB25_205:
	v_lshlrev_b32_e32 v3, 3, v28
	ds_read_b64 v[3:4], v3
	ds_read_b64 v[5:6], v32 offset:20480
	v_mov_b32_e32 v7, s63
	s_waitcnt lgkmcnt(1)
	v_lshlrev_b64 v[3:4], 3, v[3:4]
	v_add_co_u32_e32 v3, vcc, s62, v3
	v_addc_co_u32_e32 v4, vcc, v7, v4, vcc
	v_lshlrev_b32_e32 v7, 3, v52
	v_add_co_u32_e32 v3, vcc, v3, v7
	v_addc_co_u32_e32 v4, vcc, 0, v4, vcc
	s_waitcnt lgkmcnt(0)
	global_store_dwordx2 v[3:4], v[5:6], off
	s_or_b64 exec, exec, s[0:1]
	s_and_saveexec_b64 s[0:1], s[46:47]
	s_cbranch_execnz .LBB25_148
.LBB25_206:
	s_or_b64 exec, exec, s[0:1]
	s_and_saveexec_b64 s[0:1], s[48:49]
	s_cbranch_execz .LBB25_149
.LBB25_207:
	v_lshlrev_b32_e32 v3, 3, v27
	ds_read_b64 v[3:4], v3
	ds_read_b64 v[5:6], v32 offset:24576
	v_mov_b32_e32 v7, s63
	s_waitcnt lgkmcnt(1)
	v_lshlrev_b64 v[3:4], 3, v[3:4]
	v_add_co_u32_e32 v3, vcc, s62, v3
	v_addc_co_u32_e32 v4, vcc, v7, v4, vcc
	v_lshlrev_b32_e32 v7, 3, v54
	v_add_co_u32_e32 v3, vcc, v3, v7
	v_addc_co_u32_e32 v4, vcc, 0, v4, vcc
	s_waitcnt lgkmcnt(0)
	global_store_dwordx2 v[3:4], v[5:6], off
	s_or_b64 exec, exec, s[0:1]
	s_add_i32 s33, s33, -1
	s_cmp_eq_u32 s6, s33
	s_cbranch_scc1 .LBB25_150
	s_branch .LBB25_151
	.section	.rodata,"a",@progbits
	.p2align	6, 0x0
	.amdhsa_kernel _ZN7rocprim17ROCPRIM_304000_NS6detail25onesweep_iteration_kernelINS1_34wrapped_radix_sort_onesweep_configINS0_14default_configEtN2at4cuda3cub6detail10OpaqueTypeILi8EEEEELb0EPtSC_PSA_SD_mNS0_19identity_decomposerEEEvT1_T2_T3_T4_jPT5_SK_PNS1_23onesweep_lookback_stateET6_jjj
		.amdhsa_group_segment_fixed_size 26624
		.amdhsa_private_segment_fixed_size 0
		.amdhsa_kernarg_size 336
		.amdhsa_user_sgpr_count 6
		.amdhsa_user_sgpr_private_segment_buffer 1
		.amdhsa_user_sgpr_dispatch_ptr 0
		.amdhsa_user_sgpr_queue_ptr 0
		.amdhsa_user_sgpr_kernarg_segment_ptr 1
		.amdhsa_user_sgpr_dispatch_id 0
		.amdhsa_user_sgpr_flat_scratch_init 0
		.amdhsa_user_sgpr_private_segment_size 0
		.amdhsa_uses_dynamic_stack 0
		.amdhsa_system_sgpr_private_segment_wavefront_offset 0
		.amdhsa_system_sgpr_workgroup_id_x 1
		.amdhsa_system_sgpr_workgroup_id_y 0
		.amdhsa_system_sgpr_workgroup_id_z 0
		.amdhsa_system_sgpr_workgroup_info 0
		.amdhsa_system_vgpr_workitem_id 2
		.amdhsa_next_free_vgpr 85
		.amdhsa_next_free_sgpr 98
		.amdhsa_reserve_vcc 1
		.amdhsa_reserve_flat_scratch 0
		.amdhsa_float_round_mode_32 0
		.amdhsa_float_round_mode_16_64 0
		.amdhsa_float_denorm_mode_32 3
		.amdhsa_float_denorm_mode_16_64 3
		.amdhsa_dx10_clamp 1
		.amdhsa_ieee_mode 1
		.amdhsa_fp16_overflow 0
		.amdhsa_exception_fp_ieee_invalid_op 0
		.amdhsa_exception_fp_denorm_src 0
		.amdhsa_exception_fp_ieee_div_zero 0
		.amdhsa_exception_fp_ieee_overflow 0
		.amdhsa_exception_fp_ieee_underflow 0
		.amdhsa_exception_fp_ieee_inexact 0
		.amdhsa_exception_int_div_zero 0
	.end_amdhsa_kernel
	.section	.text._ZN7rocprim17ROCPRIM_304000_NS6detail25onesweep_iteration_kernelINS1_34wrapped_radix_sort_onesweep_configINS0_14default_configEtN2at4cuda3cub6detail10OpaqueTypeILi8EEEEELb0EPtSC_PSA_SD_mNS0_19identity_decomposerEEEvT1_T2_T3_T4_jPT5_SK_PNS1_23onesweep_lookback_stateET6_jjj,"axG",@progbits,_ZN7rocprim17ROCPRIM_304000_NS6detail25onesweep_iteration_kernelINS1_34wrapped_radix_sort_onesweep_configINS0_14default_configEtN2at4cuda3cub6detail10OpaqueTypeILi8EEEEELb0EPtSC_PSA_SD_mNS0_19identity_decomposerEEEvT1_T2_T3_T4_jPT5_SK_PNS1_23onesweep_lookback_stateET6_jjj,comdat
.Lfunc_end25:
	.size	_ZN7rocprim17ROCPRIM_304000_NS6detail25onesweep_iteration_kernelINS1_34wrapped_radix_sort_onesweep_configINS0_14default_configEtN2at4cuda3cub6detail10OpaqueTypeILi8EEEEELb0EPtSC_PSA_SD_mNS0_19identity_decomposerEEEvT1_T2_T3_T4_jPT5_SK_PNS1_23onesweep_lookback_stateET6_jjj, .Lfunc_end25-_ZN7rocprim17ROCPRIM_304000_NS6detail25onesweep_iteration_kernelINS1_34wrapped_radix_sort_onesweep_configINS0_14default_configEtN2at4cuda3cub6detail10OpaqueTypeILi8EEEEELb0EPtSC_PSA_SD_mNS0_19identity_decomposerEEEvT1_T2_T3_T4_jPT5_SK_PNS1_23onesweep_lookback_stateET6_jjj
                                        ; -- End function
	.set _ZN7rocprim17ROCPRIM_304000_NS6detail25onesweep_iteration_kernelINS1_34wrapped_radix_sort_onesweep_configINS0_14default_configEtN2at4cuda3cub6detail10OpaqueTypeILi8EEEEELb0EPtSC_PSA_SD_mNS0_19identity_decomposerEEEvT1_T2_T3_T4_jPT5_SK_PNS1_23onesweep_lookback_stateET6_jjj.num_vgpr, 65
	.set _ZN7rocprim17ROCPRIM_304000_NS6detail25onesweep_iteration_kernelINS1_34wrapped_radix_sort_onesweep_configINS0_14default_configEtN2at4cuda3cub6detail10OpaqueTypeILi8EEEEELb0EPtSC_PSA_SD_mNS0_19identity_decomposerEEEvT1_T2_T3_T4_jPT5_SK_PNS1_23onesweep_lookback_stateET6_jjj.num_agpr, 0
	.set _ZN7rocprim17ROCPRIM_304000_NS6detail25onesweep_iteration_kernelINS1_34wrapped_radix_sort_onesweep_configINS0_14default_configEtN2at4cuda3cub6detail10OpaqueTypeILi8EEEEELb0EPtSC_PSA_SD_mNS0_19identity_decomposerEEEvT1_T2_T3_T4_jPT5_SK_PNS1_23onesweep_lookback_stateET6_jjj.numbered_sgpr, 75
	.set _ZN7rocprim17ROCPRIM_304000_NS6detail25onesweep_iteration_kernelINS1_34wrapped_radix_sort_onesweep_configINS0_14default_configEtN2at4cuda3cub6detail10OpaqueTypeILi8EEEEELb0EPtSC_PSA_SD_mNS0_19identity_decomposerEEEvT1_T2_T3_T4_jPT5_SK_PNS1_23onesweep_lookback_stateET6_jjj.num_named_barrier, 0
	.set _ZN7rocprim17ROCPRIM_304000_NS6detail25onesweep_iteration_kernelINS1_34wrapped_radix_sort_onesweep_configINS0_14default_configEtN2at4cuda3cub6detail10OpaqueTypeILi8EEEEELb0EPtSC_PSA_SD_mNS0_19identity_decomposerEEEvT1_T2_T3_T4_jPT5_SK_PNS1_23onesweep_lookback_stateET6_jjj.private_seg_size, 0
	.set _ZN7rocprim17ROCPRIM_304000_NS6detail25onesweep_iteration_kernelINS1_34wrapped_radix_sort_onesweep_configINS0_14default_configEtN2at4cuda3cub6detail10OpaqueTypeILi8EEEEELb0EPtSC_PSA_SD_mNS0_19identity_decomposerEEEvT1_T2_T3_T4_jPT5_SK_PNS1_23onesweep_lookback_stateET6_jjj.uses_vcc, 1
	.set _ZN7rocprim17ROCPRIM_304000_NS6detail25onesweep_iteration_kernelINS1_34wrapped_radix_sort_onesweep_configINS0_14default_configEtN2at4cuda3cub6detail10OpaqueTypeILi8EEEEELb0EPtSC_PSA_SD_mNS0_19identity_decomposerEEEvT1_T2_T3_T4_jPT5_SK_PNS1_23onesweep_lookback_stateET6_jjj.uses_flat_scratch, 0
	.set _ZN7rocprim17ROCPRIM_304000_NS6detail25onesweep_iteration_kernelINS1_34wrapped_radix_sort_onesweep_configINS0_14default_configEtN2at4cuda3cub6detail10OpaqueTypeILi8EEEEELb0EPtSC_PSA_SD_mNS0_19identity_decomposerEEEvT1_T2_T3_T4_jPT5_SK_PNS1_23onesweep_lookback_stateET6_jjj.has_dyn_sized_stack, 0
	.set _ZN7rocprim17ROCPRIM_304000_NS6detail25onesweep_iteration_kernelINS1_34wrapped_radix_sort_onesweep_configINS0_14default_configEtN2at4cuda3cub6detail10OpaqueTypeILi8EEEEELb0EPtSC_PSA_SD_mNS0_19identity_decomposerEEEvT1_T2_T3_T4_jPT5_SK_PNS1_23onesweep_lookback_stateET6_jjj.has_recursion, 0
	.set _ZN7rocprim17ROCPRIM_304000_NS6detail25onesweep_iteration_kernelINS1_34wrapped_radix_sort_onesweep_configINS0_14default_configEtN2at4cuda3cub6detail10OpaqueTypeILi8EEEEELb0EPtSC_PSA_SD_mNS0_19identity_decomposerEEEvT1_T2_T3_T4_jPT5_SK_PNS1_23onesweep_lookback_stateET6_jjj.has_indirect_call, 0
	.section	.AMDGPU.csdata,"",@progbits
; Kernel info:
; codeLenInByte = 18988
; TotalNumSgprs: 79
; NumVgprs: 65
; ScratchSize: 0
; MemoryBound: 0
; FloatMode: 240
; IeeeMode: 1
; LDSByteSize: 26624 bytes/workgroup (compile time only)
; SGPRBlocks: 12
; VGPRBlocks: 21
; NumSGPRsForWavesPerEU: 102
; NumVGPRsForWavesPerEU: 85
; Occupancy: 2
; WaveLimiterHint : 1
; COMPUTE_PGM_RSRC2:SCRATCH_EN: 0
; COMPUTE_PGM_RSRC2:USER_SGPR: 6
; COMPUTE_PGM_RSRC2:TRAP_HANDLER: 0
; COMPUTE_PGM_RSRC2:TGID_X_EN: 1
; COMPUTE_PGM_RSRC2:TGID_Y_EN: 0
; COMPUTE_PGM_RSRC2:TGID_Z_EN: 0
; COMPUTE_PGM_RSRC2:TIDIG_COMP_CNT: 2
	.section	.AMDGPU.gpr_maximums,"",@progbits
	.set amdgpu.max_num_vgpr, 0
	.set amdgpu.max_num_agpr, 0
	.set amdgpu.max_num_sgpr, 0
	.section	.AMDGPU.csdata,"",@progbits
	.type	__hip_cuid_1afe8fc5fca49bcc,@object ; @__hip_cuid_1afe8fc5fca49bcc
	.section	.bss,"aw",@nobits
	.globl	__hip_cuid_1afe8fc5fca49bcc
__hip_cuid_1afe8fc5fca49bcc:
	.byte	0                               ; 0x0
	.size	__hip_cuid_1afe8fc5fca49bcc, 1

	.ident	"AMD clang version 22.0.0git (https://github.com/RadeonOpenCompute/llvm-project roc-7.2.4 26084 f58b06dce1f9c15707c5f808fd002e18c2accf7e)"
	.section	".note.GNU-stack","",@progbits
	.addrsig
	.addrsig_sym __hip_cuid_1afe8fc5fca49bcc
	.amdgpu_metadata
---
amdhsa.kernels:
  - .args:
      - .address_space:  global
        .offset:         0
        .size:           8
        .value_kind:     global_buffer
      - .address_space:  global
        .offset:         8
        .size:           8
        .value_kind:     global_buffer
      - .address_space:  global
        .offset:         16
        .size:           8
        .value_kind:     global_buffer
      - .address_space:  global
        .offset:         24
        .size:           8
        .value_kind:     global_buffer
      - .offset:         32
        .size:           4
        .value_kind:     by_value
      - .offset:         36
        .size:           1
        .value_kind:     by_value
      - .offset:         40
        .size:           4
        .value_kind:     by_value
      - .offset:         44
        .size:           4
        .value_kind:     by_value
      - .offset:         48
        .size:           4
        .value_kind:     hidden_block_count_x
      - .offset:         52
        .size:           4
        .value_kind:     hidden_block_count_y
      - .offset:         56
        .size:           4
        .value_kind:     hidden_block_count_z
      - .offset:         60
        .size:           2
        .value_kind:     hidden_group_size_x
      - .offset:         62
        .size:           2
        .value_kind:     hidden_group_size_y
      - .offset:         64
        .size:           2
        .value_kind:     hidden_group_size_z
      - .offset:         66
        .size:           2
        .value_kind:     hidden_remainder_x
      - .offset:         68
        .size:           2
        .value_kind:     hidden_remainder_y
      - .offset:         70
        .size:           2
        .value_kind:     hidden_remainder_z
      - .offset:         88
        .size:           8
        .value_kind:     hidden_global_offset_x
      - .offset:         96
        .size:           8
        .value_kind:     hidden_global_offset_y
      - .offset:         104
        .size:           8
        .value_kind:     hidden_global_offset_z
      - .offset:         112
        .size:           2
        .value_kind:     hidden_grid_dims
    .group_segment_fixed_size: 8192
    .kernarg_segment_align: 8
    .kernarg_segment_size: 304
    .language:       OpenCL C
    .language_version:
      - 2
      - 0
    .max_flat_workgroup_size: 256
    .name:           _ZN7rocprim17ROCPRIM_304000_NS6detail28radix_sort_block_sort_kernelINS1_36wrapped_radix_sort_block_sort_configINS0_13kernel_configILj256ELj4ELj4294967295EEEtN2at4cuda3cub6detail10OpaqueTypeILi8EEEEELb1EPKtPtPKSB_PSB_NS0_19identity_decomposerEEEvT1_T2_T3_T4_jT5_jj
    .private_segment_fixed_size: 0
    .sgpr_count:     52
    .sgpr_spill_count: 0
    .symbol:         _ZN7rocprim17ROCPRIM_304000_NS6detail28radix_sort_block_sort_kernelINS1_36wrapped_radix_sort_block_sort_configINS0_13kernel_configILj256ELj4ELj4294967295EEEtN2at4cuda3cub6detail10OpaqueTypeILi8EEEEELb1EPKtPtPKSB_PSB_NS0_19identity_decomposerEEEvT1_T2_T3_T4_jT5_jj.kd
    .uniform_work_group_size: 1
    .uses_dynamic_stack: false
    .vgpr_count:     52
    .vgpr_spill_count: 0
    .wavefront_size: 64
  - .args:           []
    .group_segment_fixed_size: 0
    .kernarg_segment_align: 4
    .kernarg_segment_size: 0
    .language:       OpenCL C
    .language_version:
      - 2
      - 0
    .max_flat_workgroup_size: 1024
    .name:           _ZN7rocprim17ROCPRIM_304000_NS6detail39device_merge_sort_compile_time_verifierINS1_36wrapped_merge_sort_block_sort_configINS1_28merge_sort_block_sort_configILj256ELj4ELNS0_20block_sort_algorithmE0EEEtN2at4cuda3cub6detail10OpaqueTypeILi8EEEEENS1_37wrapped_merge_sort_block_merge_configINS0_14default_configEtSC_EEEEvv
    .private_segment_fixed_size: 0
    .sgpr_count:     4
    .sgpr_spill_count: 0
    .symbol:         _ZN7rocprim17ROCPRIM_304000_NS6detail39device_merge_sort_compile_time_verifierINS1_36wrapped_merge_sort_block_sort_configINS1_28merge_sort_block_sort_configILj256ELj4ELNS0_20block_sort_algorithmE0EEEtN2at4cuda3cub6detail10OpaqueTypeILi8EEEEENS1_37wrapped_merge_sort_block_merge_configINS0_14default_configEtSC_EEEEvv.kd
    .uniform_work_group_size: 1
    .uses_dynamic_stack: false
    .vgpr_count:     0
    .vgpr_spill_count: 0
    .wavefront_size: 64
  - .args:
      - .address_space:  global
        .offset:         0
        .size:           8
        .value_kind:     global_buffer
      - .offset:         8
        .size:           4
        .value_kind:     by_value
      - .offset:         12
        .size:           4
        .value_kind:     by_value
      - .address_space:  global
        .offset:         16
        .size:           8
        .value_kind:     global_buffer
      - .offset:         24
        .size:           1
        .value_kind:     by_value
      - .offset:         28
        .size:           4
        .value_kind:     by_value
    .group_segment_fixed_size: 0
    .kernarg_segment_align: 8
    .kernarg_segment_size: 32
    .language:       OpenCL C
    .language_version:
      - 2
      - 0
    .max_flat_workgroup_size: 128
    .name:           _ZN7rocprim17ROCPRIM_304000_NS6detail45device_block_merge_mergepath_partition_kernelINS1_37wrapped_merge_sort_block_merge_configINS0_14default_configEtN2at4cuda3cub6detail10OpaqueTypeILi8EEEEEPtjNS1_19radix_merge_compareILb1ELb0EtNS0_19identity_decomposerEEEEEvT0_T1_jPSH_T2_SH_
    .private_segment_fixed_size: 0
    .sgpr_count:     11
    .sgpr_spill_count: 0
    .symbol:         _ZN7rocprim17ROCPRIM_304000_NS6detail45device_block_merge_mergepath_partition_kernelINS1_37wrapped_merge_sort_block_merge_configINS0_14default_configEtN2at4cuda3cub6detail10OpaqueTypeILi8EEEEEPtjNS1_19radix_merge_compareILb1ELb0EtNS0_19identity_decomposerEEEEEvT0_T1_jPSH_T2_SH_.kd
    .uniform_work_group_size: 1
    .uses_dynamic_stack: false
    .vgpr_count:     15
    .vgpr_spill_count: 0
    .wavefront_size: 64
  - .args:
      - .address_space:  global
        .offset:         0
        .size:           8
        .value_kind:     global_buffer
      - .address_space:  global
        .offset:         8
        .size:           8
        .value_kind:     global_buffer
      - .address_space:  global
        .offset:         16
        .size:           8
        .value_kind:     global_buffer
      - .address_space:  global
        .offset:         24
        .size:           8
        .value_kind:     global_buffer
      - .offset:         32
        .size:           4
        .value_kind:     by_value
      - .offset:         36
        .size:           4
        .value_kind:     by_value
      - .offset:         40
        .size:           4
        .value_kind:     by_value
      - .offset:         44
        .size:           1
        .value_kind:     by_value
      - .address_space:  global
        .offset:         48
        .size:           8
        .value_kind:     global_buffer
      - .address_space:  global
        .offset:         56
        .size:           8
        .value_kind:     global_buffer
      - .offset:         64
        .size:           4
        .value_kind:     hidden_block_count_x
      - .offset:         68
        .size:           4
        .value_kind:     hidden_block_count_y
      - .offset:         72
        .size:           4
        .value_kind:     hidden_block_count_z
      - .offset:         76
        .size:           2
        .value_kind:     hidden_group_size_x
      - .offset:         78
        .size:           2
        .value_kind:     hidden_group_size_y
      - .offset:         80
        .size:           2
        .value_kind:     hidden_group_size_z
      - .offset:         82
        .size:           2
        .value_kind:     hidden_remainder_x
      - .offset:         84
        .size:           2
        .value_kind:     hidden_remainder_y
      - .offset:         86
        .size:           2
        .value_kind:     hidden_remainder_z
      - .offset:         104
        .size:           8
        .value_kind:     hidden_global_offset_x
      - .offset:         112
        .size:           8
        .value_kind:     hidden_global_offset_y
      - .offset:         120
        .size:           8
        .value_kind:     hidden_global_offset_z
      - .offset:         128
        .size:           2
        .value_kind:     hidden_grid_dims
    .group_segment_fixed_size: 8208
    .kernarg_segment_align: 8
    .kernarg_segment_size: 320
    .language:       OpenCL C
    .language_version:
      - 2
      - 0
    .max_flat_workgroup_size: 128
    .name:           _ZN7rocprim17ROCPRIM_304000_NS6detail35device_block_merge_mergepath_kernelINS1_37wrapped_merge_sort_block_merge_configINS0_14default_configEtN2at4cuda3cub6detail10OpaqueTypeILi8EEEEEPtSC_PSA_SD_jNS1_19radix_merge_compareILb1ELb0EtNS0_19identity_decomposerEEEEEvT0_T1_T2_T3_T4_SL_jT5_PKSL_NS1_7vsmem_tE
    .private_segment_fixed_size: 0
    .sgpr_count:     38
    .sgpr_spill_count: 0
    .symbol:         _ZN7rocprim17ROCPRIM_304000_NS6detail35device_block_merge_mergepath_kernelINS1_37wrapped_merge_sort_block_merge_configINS0_14default_configEtN2at4cuda3cub6detail10OpaqueTypeILi8EEEEEPtSC_PSA_SD_jNS1_19radix_merge_compareILb1ELb0EtNS0_19identity_decomposerEEEEEvT0_T1_T2_T3_T4_SL_jT5_PKSL_NS1_7vsmem_tE.kd
    .uniform_work_group_size: 1
    .uses_dynamic_stack: false
    .vgpr_count:     34
    .vgpr_spill_count: 0
    .wavefront_size: 64
  - .args:
      - .address_space:  global
        .offset:         0
        .size:           8
        .value_kind:     global_buffer
      - .address_space:  global
        .offset:         8
        .size:           8
        .value_kind:     global_buffer
      - .address_space:  global
        .offset:         16
        .size:           8
        .value_kind:     global_buffer
      - .address_space:  global
        .offset:         24
        .size:           8
        .value_kind:     global_buffer
      - .offset:         32
        .size:           4
        .value_kind:     by_value
      - .offset:         36
        .size:           4
        .value_kind:     by_value
      - .offset:         40
        .size:           1
        .value_kind:     by_value
    .group_segment_fixed_size: 0
    .kernarg_segment_align: 8
    .kernarg_segment_size: 44
    .language:       OpenCL C
    .language_version:
      - 2
      - 0
    .max_flat_workgroup_size: 256
    .name:           _ZN7rocprim17ROCPRIM_304000_NS6detail33device_block_merge_oddeven_kernelINS1_37wrapped_merge_sort_block_merge_configINS0_14default_configEtN2at4cuda3cub6detail10OpaqueTypeILi8EEEEEPtSC_PSA_SD_jNS1_19radix_merge_compareILb1ELb0EtNS0_19identity_decomposerEEEEEvT0_T1_T2_T3_T4_SL_T5_
    .private_segment_fixed_size: 0
    .sgpr_count:     26
    .sgpr_spill_count: 0
    .symbol:         _ZN7rocprim17ROCPRIM_304000_NS6detail33device_block_merge_oddeven_kernelINS1_37wrapped_merge_sort_block_merge_configINS0_14default_configEtN2at4cuda3cub6detail10OpaqueTypeILi8EEEEEPtSC_PSA_SD_jNS1_19radix_merge_compareILb1ELb0EtNS0_19identity_decomposerEEEEEvT0_T1_T2_T3_T4_SL_T5_.kd
    .uniform_work_group_size: 1
    .uses_dynamic_stack: false
    .vgpr_count:     10
    .vgpr_spill_count: 0
    .wavefront_size: 64
  - .args:
      - .address_space:  global
        .offset:         0
        .size:           8
        .value_kind:     global_buffer
      - .offset:         8
        .size:           8
        .value_kind:     by_value
      - .address_space:  global
        .offset:         16
        .size:           8
        .value_kind:     global_buffer
      - .offset:         24
        .size:           1
        .value_kind:     by_value
      - .offset:         32
        .size:           4
        .value_kind:     hidden_block_count_x
      - .offset:         36
        .size:           4
        .value_kind:     hidden_block_count_y
      - .offset:         40
        .size:           4
        .value_kind:     hidden_block_count_z
      - .offset:         44
        .size:           2
        .value_kind:     hidden_group_size_x
      - .offset:         46
        .size:           2
        .value_kind:     hidden_group_size_y
      - .offset:         48
        .size:           2
        .value_kind:     hidden_group_size_z
      - .offset:         50
        .size:           2
        .value_kind:     hidden_remainder_x
      - .offset:         52
        .size:           2
        .value_kind:     hidden_remainder_y
      - .offset:         54
        .size:           2
        .value_kind:     hidden_remainder_z
      - .offset:         72
        .size:           8
        .value_kind:     hidden_global_offset_x
      - .offset:         80
        .size:           8
        .value_kind:     hidden_global_offset_y
      - .offset:         88
        .size:           8
        .value_kind:     hidden_global_offset_z
      - .offset:         96
        .size:           2
        .value_kind:     hidden_grid_dims
    .group_segment_fixed_size: 0
    .kernarg_segment_align: 8
    .kernarg_segment_size: 288
    .language:       OpenCL C
    .language_version:
      - 2
      - 0
    .max_flat_workgroup_size: 512
    .name:           _ZN7rocprim17ROCPRIM_304000_NS6detail16transform_kernelINS1_24wrapped_transform_configINS0_14default_configEtEEtPtS6_NS0_8identityItEEEEvT1_mT2_T3_
    .private_segment_fixed_size: 0
    .sgpr_count:     19
    .sgpr_spill_count: 0
    .symbol:         _ZN7rocprim17ROCPRIM_304000_NS6detail16transform_kernelINS1_24wrapped_transform_configINS0_14default_configEtEEtPtS6_NS0_8identityItEEEEvT1_mT2_T3_.kd
    .uniform_work_group_size: 1
    .uses_dynamic_stack: false
    .vgpr_count:     8
    .vgpr_spill_count: 0
    .wavefront_size: 64
  - .args:
      - .address_space:  global
        .offset:         0
        .size:           8
        .value_kind:     global_buffer
      - .offset:         8
        .size:           8
        .value_kind:     by_value
      - .address_space:  global
        .offset:         16
        .size:           8
        .value_kind:     global_buffer
      - .offset:         24
        .size:           1
        .value_kind:     by_value
      - .offset:         32
        .size:           4
        .value_kind:     hidden_block_count_x
      - .offset:         36
        .size:           4
        .value_kind:     hidden_block_count_y
      - .offset:         40
        .size:           4
        .value_kind:     hidden_block_count_z
      - .offset:         44
        .size:           2
        .value_kind:     hidden_group_size_x
      - .offset:         46
        .size:           2
        .value_kind:     hidden_group_size_y
      - .offset:         48
        .size:           2
        .value_kind:     hidden_group_size_z
      - .offset:         50
        .size:           2
        .value_kind:     hidden_remainder_x
      - .offset:         52
        .size:           2
        .value_kind:     hidden_remainder_y
      - .offset:         54
        .size:           2
        .value_kind:     hidden_remainder_z
      - .offset:         72
        .size:           8
        .value_kind:     hidden_global_offset_x
      - .offset:         80
        .size:           8
        .value_kind:     hidden_global_offset_y
      - .offset:         88
        .size:           8
        .value_kind:     hidden_global_offset_z
      - .offset:         96
        .size:           2
        .value_kind:     hidden_grid_dims
    .group_segment_fixed_size: 0
    .kernarg_segment_align: 8
    .kernarg_segment_size: 288
    .language:       OpenCL C
    .language_version:
      - 2
      - 0
    .max_flat_workgroup_size: 512
    .name:           _ZN7rocprim17ROCPRIM_304000_NS6detail16transform_kernelINS1_24wrapped_transform_configINS0_14default_configEN2at4cuda3cub6detail10OpaqueTypeILi8EEEEESA_PSA_SC_NS0_8identityISA_EEEEvT1_mT2_T3_
    .private_segment_fixed_size: 0
    .sgpr_count:     14
    .sgpr_spill_count: 0
    .symbol:         _ZN7rocprim17ROCPRIM_304000_NS6detail16transform_kernelINS1_24wrapped_transform_configINS0_14default_configEN2at4cuda3cub6detail10OpaqueTypeILi8EEEEESA_PSA_SC_NS0_8identityISA_EEEEvT1_mT2_T3_.kd
    .uniform_work_group_size: 1
    .uses_dynamic_stack: false
    .vgpr_count:     3
    .vgpr_spill_count: 0
    .wavefront_size: 64
  - .args:
      - .address_space:  global
        .offset:         0
        .size:           8
        .value_kind:     global_buffer
      - .offset:         8
        .size:           4
        .value_kind:     by_value
      - .offset:         12
        .size:           4
        .value_kind:     by_value
      - .address_space:  global
        .offset:         16
        .size:           8
        .value_kind:     global_buffer
      - .offset:         24
        .size:           2
        .value_kind:     by_value
      - .offset:         28
        .size:           4
        .value_kind:     by_value
    .group_segment_fixed_size: 0
    .kernarg_segment_align: 8
    .kernarg_segment_size: 32
    .language:       OpenCL C
    .language_version:
      - 2
      - 0
    .max_flat_workgroup_size: 128
    .name:           _ZN7rocprim17ROCPRIM_304000_NS6detail45device_block_merge_mergepath_partition_kernelINS1_37wrapped_merge_sort_block_merge_configINS0_14default_configEtN2at4cuda3cub6detail10OpaqueTypeILi8EEEEEPtjNS1_19radix_merge_compareILb1ELb1EtNS0_19identity_decomposerEEEEEvT0_T1_jPSH_T2_SH_
    .private_segment_fixed_size: 0
    .sgpr_count:     12
    .sgpr_spill_count: 0
    .symbol:         _ZN7rocprim17ROCPRIM_304000_NS6detail45device_block_merge_mergepath_partition_kernelINS1_37wrapped_merge_sort_block_merge_configINS0_14default_configEtN2at4cuda3cub6detail10OpaqueTypeILi8EEEEEPtjNS1_19radix_merge_compareILb1ELb1EtNS0_19identity_decomposerEEEEEvT0_T1_jPSH_T2_SH_.kd
    .uniform_work_group_size: 1
    .uses_dynamic_stack: false
    .vgpr_count:     15
    .vgpr_spill_count: 0
    .wavefront_size: 64
  - .args:
      - .address_space:  global
        .offset:         0
        .size:           8
        .value_kind:     global_buffer
      - .address_space:  global
        .offset:         8
        .size:           8
        .value_kind:     global_buffer
      - .address_space:  global
        .offset:         16
        .size:           8
        .value_kind:     global_buffer
      - .address_space:  global
        .offset:         24
        .size:           8
        .value_kind:     global_buffer
      - .offset:         32
        .size:           4
        .value_kind:     by_value
      - .offset:         36
        .size:           4
        .value_kind:     by_value
      - .offset:         40
        .size:           4
        .value_kind:     by_value
      - .offset:         44
        .size:           2
        .value_kind:     by_value
      - .address_space:  global
        .offset:         48
        .size:           8
        .value_kind:     global_buffer
      - .address_space:  global
        .offset:         56
        .size:           8
        .value_kind:     global_buffer
      - .offset:         64
        .size:           4
        .value_kind:     hidden_block_count_x
      - .offset:         68
        .size:           4
        .value_kind:     hidden_block_count_y
      - .offset:         72
        .size:           4
        .value_kind:     hidden_block_count_z
      - .offset:         76
        .size:           2
        .value_kind:     hidden_group_size_x
      - .offset:         78
        .size:           2
        .value_kind:     hidden_group_size_y
      - .offset:         80
        .size:           2
        .value_kind:     hidden_group_size_z
      - .offset:         82
        .size:           2
        .value_kind:     hidden_remainder_x
      - .offset:         84
        .size:           2
        .value_kind:     hidden_remainder_y
      - .offset:         86
        .size:           2
        .value_kind:     hidden_remainder_z
      - .offset:         104
        .size:           8
        .value_kind:     hidden_global_offset_x
      - .offset:         112
        .size:           8
        .value_kind:     hidden_global_offset_y
      - .offset:         120
        .size:           8
        .value_kind:     hidden_global_offset_z
      - .offset:         128
        .size:           2
        .value_kind:     hidden_grid_dims
    .group_segment_fixed_size: 8208
    .kernarg_segment_align: 8
    .kernarg_segment_size: 320
    .language:       OpenCL C
    .language_version:
      - 2
      - 0
    .max_flat_workgroup_size: 128
    .name:           _ZN7rocprim17ROCPRIM_304000_NS6detail35device_block_merge_mergepath_kernelINS1_37wrapped_merge_sort_block_merge_configINS0_14default_configEtN2at4cuda3cub6detail10OpaqueTypeILi8EEEEEPtSC_PSA_SD_jNS1_19radix_merge_compareILb1ELb1EtNS0_19identity_decomposerEEEEEvT0_T1_T2_T3_T4_SL_jT5_PKSL_NS1_7vsmem_tE
    .private_segment_fixed_size: 0
    .sgpr_count:     39
    .sgpr_spill_count: 0
    .symbol:         _ZN7rocprim17ROCPRIM_304000_NS6detail35device_block_merge_mergepath_kernelINS1_37wrapped_merge_sort_block_merge_configINS0_14default_configEtN2at4cuda3cub6detail10OpaqueTypeILi8EEEEEPtSC_PSA_SD_jNS1_19radix_merge_compareILb1ELb1EtNS0_19identity_decomposerEEEEEvT0_T1_T2_T3_T4_SL_jT5_PKSL_NS1_7vsmem_tE.kd
    .uniform_work_group_size: 1
    .uses_dynamic_stack: false
    .vgpr_count:     34
    .vgpr_spill_count: 0
    .wavefront_size: 64
  - .args:
      - .address_space:  global
        .offset:         0
        .size:           8
        .value_kind:     global_buffer
      - .address_space:  global
        .offset:         8
        .size:           8
        .value_kind:     global_buffer
      - .address_space:  global
        .offset:         16
        .size:           8
        .value_kind:     global_buffer
      - .address_space:  global
        .offset:         24
        .size:           8
        .value_kind:     global_buffer
      - .offset:         32
        .size:           4
        .value_kind:     by_value
      - .offset:         36
        .size:           4
        .value_kind:     by_value
      - .offset:         40
        .size:           2
        .value_kind:     by_value
    .group_segment_fixed_size: 0
    .kernarg_segment_align: 8
    .kernarg_segment_size: 44
    .language:       OpenCL C
    .language_version:
      - 2
      - 0
    .max_flat_workgroup_size: 256
    .name:           _ZN7rocprim17ROCPRIM_304000_NS6detail33device_block_merge_oddeven_kernelINS1_37wrapped_merge_sort_block_merge_configINS0_14default_configEtN2at4cuda3cub6detail10OpaqueTypeILi8EEEEEPtSC_PSA_SD_jNS1_19radix_merge_compareILb1ELb1EtNS0_19identity_decomposerEEEEEvT0_T1_T2_T3_T4_SL_T5_
    .private_segment_fixed_size: 0
    .sgpr_count:     28
    .sgpr_spill_count: 0
    .symbol:         _ZN7rocprim17ROCPRIM_304000_NS6detail33device_block_merge_oddeven_kernelINS1_37wrapped_merge_sort_block_merge_configINS0_14default_configEtN2at4cuda3cub6detail10OpaqueTypeILi8EEEEEPtSC_PSA_SD_jNS1_19radix_merge_compareILb1ELb1EtNS0_19identity_decomposerEEEEEvT0_T1_T2_T3_T4_SL_T5_.kd
    .uniform_work_group_size: 1
    .uses_dynamic_stack: false
    .vgpr_count:     11
    .vgpr_spill_count: 0
    .wavefront_size: 64
  - .args:
      - .address_space:  global
        .offset:         0
        .size:           8
        .value_kind:     global_buffer
      - .address_space:  global
        .offset:         8
        .size:           8
        .value_kind:     global_buffer
      - .offset:         16
        .size:           8
        .value_kind:     by_value
      - .offset:         24
        .size:           8
        .value_kind:     by_value
      - .offset:         32
        .size:           1
        .value_kind:     by_value
      - .offset:         36
        .size:           4
        .value_kind:     by_value
      - .offset:         40
        .size:           4
        .value_kind:     by_value
    .group_segment_fixed_size: 8192
    .kernarg_segment_align: 8
    .kernarg_segment_size: 44
    .language:       OpenCL C
    .language_version:
      - 2
      - 0
    .max_flat_workgroup_size: 256
    .name:           _ZN7rocprim17ROCPRIM_304000_NS6detail26onesweep_histograms_kernelINS1_34wrapped_radix_sort_onesweep_configINS0_14default_configEtN2at4cuda3cub6detail10OpaqueTypeILi8EEEEELb1EPKtmNS0_19identity_decomposerEEEvT1_PT2_SG_SG_T3_jj
    .private_segment_fixed_size: 0
    .sgpr_count:     43
    .sgpr_spill_count: 0
    .symbol:         _ZN7rocprim17ROCPRIM_304000_NS6detail26onesweep_histograms_kernelINS1_34wrapped_radix_sort_onesweep_configINS0_14default_configEtN2at4cuda3cub6detail10OpaqueTypeILi8EEEEELb1EPKtmNS0_19identity_decomposerEEEvT1_PT2_SG_SG_T3_jj.kd
    .uniform_work_group_size: 1
    .uses_dynamic_stack: false
    .vgpr_count:     24
    .vgpr_spill_count: 0
    .wavefront_size: 64
  - .args:
      - .address_space:  global
        .offset:         0
        .size:           8
        .value_kind:     global_buffer
    .group_segment_fixed_size: 32
    .kernarg_segment_align: 8
    .kernarg_segment_size: 8
    .language:       OpenCL C
    .language_version:
      - 2
      - 0
    .max_flat_workgroup_size: 256
    .name:           _ZN7rocprim17ROCPRIM_304000_NS6detail31onesweep_scan_histograms_kernelINS1_34wrapped_radix_sort_onesweep_configINS0_14default_configEtN2at4cuda3cub6detail10OpaqueTypeILi8EEEEEmEEvPT0_
    .private_segment_fixed_size: 0
    .sgpr_count:     12
    .sgpr_spill_count: 0
    .symbol:         _ZN7rocprim17ROCPRIM_304000_NS6detail31onesweep_scan_histograms_kernelINS1_34wrapped_radix_sort_onesweep_configINS0_14default_configEtN2at4cuda3cub6detail10OpaqueTypeILi8EEEEEmEEvPT0_.kd
    .uniform_work_group_size: 1
    .uses_dynamic_stack: false
    .vgpr_count:     12
    .vgpr_spill_count: 0
    .wavefront_size: 64
  - .args:
      - .address_space:  global
        .offset:         0
        .size:           8
        .value_kind:     global_buffer
      - .offset:         8
        .size:           8
        .value_kind:     by_value
      - .address_space:  global
        .offset:         16
        .size:           8
        .value_kind:     global_buffer
      - .offset:         24
        .size:           1
        .value_kind:     by_value
      - .offset:         32
        .size:           4
        .value_kind:     hidden_block_count_x
      - .offset:         36
        .size:           4
        .value_kind:     hidden_block_count_y
      - .offset:         40
        .size:           4
        .value_kind:     hidden_block_count_z
      - .offset:         44
        .size:           2
        .value_kind:     hidden_group_size_x
      - .offset:         46
        .size:           2
        .value_kind:     hidden_group_size_y
      - .offset:         48
        .size:           2
        .value_kind:     hidden_group_size_z
      - .offset:         50
        .size:           2
        .value_kind:     hidden_remainder_x
      - .offset:         52
        .size:           2
        .value_kind:     hidden_remainder_y
      - .offset:         54
        .size:           2
        .value_kind:     hidden_remainder_z
      - .offset:         72
        .size:           8
        .value_kind:     hidden_global_offset_x
      - .offset:         80
        .size:           8
        .value_kind:     hidden_global_offset_y
      - .offset:         88
        .size:           8
        .value_kind:     hidden_global_offset_z
      - .offset:         96
        .size:           2
        .value_kind:     hidden_grid_dims
    .group_segment_fixed_size: 0
    .kernarg_segment_align: 8
    .kernarg_segment_size: 288
    .language:       OpenCL C
    .language_version:
      - 2
      - 0
    .max_flat_workgroup_size: 512
    .name:           _ZN7rocprim17ROCPRIM_304000_NS6detail16transform_kernelINS1_24wrapped_transform_configINS0_14default_configEtEEtPKtPtNS0_8identityItEEEEvT1_mT2_T3_
    .private_segment_fixed_size: 0
    .sgpr_count:     19
    .sgpr_spill_count: 0
    .symbol:         _ZN7rocprim17ROCPRIM_304000_NS6detail16transform_kernelINS1_24wrapped_transform_configINS0_14default_configEtEEtPKtPtNS0_8identityItEEEEvT1_mT2_T3_.kd
    .uniform_work_group_size: 1
    .uses_dynamic_stack: false
    .vgpr_count:     8
    .vgpr_spill_count: 0
    .wavefront_size: 64
  - .args:
      - .address_space:  global
        .offset:         0
        .size:           8
        .value_kind:     global_buffer
      - .offset:         8
        .size:           8
        .value_kind:     by_value
      - .address_space:  global
        .offset:         16
        .size:           8
        .value_kind:     global_buffer
      - .offset:         24
        .size:           1
        .value_kind:     by_value
      - .offset:         32
        .size:           4
        .value_kind:     hidden_block_count_x
      - .offset:         36
        .size:           4
        .value_kind:     hidden_block_count_y
      - .offset:         40
        .size:           4
        .value_kind:     hidden_block_count_z
      - .offset:         44
        .size:           2
        .value_kind:     hidden_group_size_x
      - .offset:         46
        .size:           2
        .value_kind:     hidden_group_size_y
      - .offset:         48
        .size:           2
        .value_kind:     hidden_group_size_z
      - .offset:         50
        .size:           2
        .value_kind:     hidden_remainder_x
      - .offset:         52
        .size:           2
        .value_kind:     hidden_remainder_y
      - .offset:         54
        .size:           2
        .value_kind:     hidden_remainder_z
      - .offset:         72
        .size:           8
        .value_kind:     hidden_global_offset_x
      - .offset:         80
        .size:           8
        .value_kind:     hidden_global_offset_y
      - .offset:         88
        .size:           8
        .value_kind:     hidden_global_offset_z
      - .offset:         96
        .size:           2
        .value_kind:     hidden_grid_dims
    .group_segment_fixed_size: 0
    .kernarg_segment_align: 8
    .kernarg_segment_size: 288
    .language:       OpenCL C
    .language_version:
      - 2
      - 0
    .max_flat_workgroup_size: 512
    .name:           _ZN7rocprim17ROCPRIM_304000_NS6detail16transform_kernelINS1_24wrapped_transform_configINS0_14default_configEN2at4cuda3cub6detail10OpaqueTypeILi8EEEEESA_PKSA_PSA_NS0_8identityISA_EEEEvT1_mT2_T3_
    .private_segment_fixed_size: 0
    .sgpr_count:     14
    .sgpr_spill_count: 0
    .symbol:         _ZN7rocprim17ROCPRIM_304000_NS6detail16transform_kernelINS1_24wrapped_transform_configINS0_14default_configEN2at4cuda3cub6detail10OpaqueTypeILi8EEEEESA_PKSA_PSA_NS0_8identityISA_EEEEvT1_mT2_T3_.kd
    .uniform_work_group_size: 1
    .uses_dynamic_stack: false
    .vgpr_count:     3
    .vgpr_spill_count: 0
    .wavefront_size: 64
  - .args:
      - .address_space:  global
        .offset:         0
        .size:           8
        .value_kind:     global_buffer
      - .address_space:  global
        .offset:         8
        .size:           8
        .value_kind:     global_buffer
      - .address_space:  global
        .offset:         16
        .size:           8
        .value_kind:     global_buffer
      - .address_space:  global
        .offset:         24
        .size:           8
        .value_kind:     global_buffer
      - .offset:         32
        .size:           4
        .value_kind:     by_value
      - .address_space:  global
        .offset:         40
        .size:           8
        .value_kind:     global_buffer
      - .address_space:  global
        .offset:         48
        .size:           8
        .value_kind:     global_buffer
      - .address_space:  global
        .offset:         56
        .size:           8
        .value_kind:     global_buffer
      - .offset:         64
        .size:           1
        .value_kind:     by_value
      - .offset:         68
        .size:           4
        .value_kind:     by_value
      - .offset:         72
        .size:           4
        .value_kind:     by_value
      - .offset:         76
        .size:           4
        .value_kind:     by_value
      - .offset:         80
        .size:           4
        .value_kind:     hidden_block_count_x
      - .offset:         84
        .size:           4
        .value_kind:     hidden_block_count_y
      - .offset:         88
        .size:           4
        .value_kind:     hidden_block_count_z
      - .offset:         92
        .size:           2
        .value_kind:     hidden_group_size_x
      - .offset:         94
        .size:           2
        .value_kind:     hidden_group_size_y
      - .offset:         96
        .size:           2
        .value_kind:     hidden_group_size_z
      - .offset:         98
        .size:           2
        .value_kind:     hidden_remainder_x
      - .offset:         100
        .size:           2
        .value_kind:     hidden_remainder_y
      - .offset:         102
        .size:           2
        .value_kind:     hidden_remainder_z
      - .offset:         120
        .size:           8
        .value_kind:     hidden_global_offset_x
      - .offset:         128
        .size:           8
        .value_kind:     hidden_global_offset_y
      - .offset:         136
        .size:           8
        .value_kind:     hidden_global_offset_z
      - .offset:         144
        .size:           2
        .value_kind:     hidden_grid_dims
    .group_segment_fixed_size: 26624
    .kernarg_segment_align: 8
    .kernarg_segment_size: 336
    .language:       OpenCL C
    .language_version:
      - 2
      - 0
    .max_flat_workgroup_size: 256
    .name:           _ZN7rocprim17ROCPRIM_304000_NS6detail25onesweep_iteration_kernelINS1_34wrapped_radix_sort_onesweep_configINS0_14default_configEtN2at4cuda3cub6detail10OpaqueTypeILi8EEEEELb1EPKtPtPKSA_PSA_mNS0_19identity_decomposerEEEvT1_T2_T3_T4_jPT5_SO_PNS1_23onesweep_lookback_stateET6_jjj
    .private_segment_fixed_size: 0
    .sgpr_count:     79
    .sgpr_spill_count: 0
    .symbol:         _ZN7rocprim17ROCPRIM_304000_NS6detail25onesweep_iteration_kernelINS1_34wrapped_radix_sort_onesweep_configINS0_14default_configEtN2at4cuda3cub6detail10OpaqueTypeILi8EEEEELb1EPKtPtPKSA_PSA_mNS0_19identity_decomposerEEEvT1_T2_T3_T4_jPT5_SO_PNS1_23onesweep_lookback_stateET6_jjj.kd
    .uniform_work_group_size: 1
    .uses_dynamic_stack: false
    .vgpr_count:     66
    .vgpr_spill_count: 0
    .wavefront_size: 64
  - .args:
      - .address_space:  global
        .offset:         0
        .size:           8
        .value_kind:     global_buffer
      - .address_space:  global
        .offset:         8
        .size:           8
        .value_kind:     global_buffer
      - .address_space:  global
        .offset:         16
        .size:           8
        .value_kind:     global_buffer
      - .address_space:  global
        .offset:         24
        .size:           8
        .value_kind:     global_buffer
      - .offset:         32
        .size:           4
        .value_kind:     by_value
      - .address_space:  global
        .offset:         40
        .size:           8
        .value_kind:     global_buffer
      - .address_space:  global
        .offset:         48
        .size:           8
        .value_kind:     global_buffer
      - .address_space:  global
        .offset:         56
        .size:           8
        .value_kind:     global_buffer
      - .offset:         64
        .size:           1
        .value_kind:     by_value
      - .offset:         68
        .size:           4
        .value_kind:     by_value
      - .offset:         72
        .size:           4
        .value_kind:     by_value
      - .offset:         76
        .size:           4
        .value_kind:     by_value
      - .offset:         80
        .size:           4
        .value_kind:     hidden_block_count_x
      - .offset:         84
        .size:           4
        .value_kind:     hidden_block_count_y
      - .offset:         88
        .size:           4
        .value_kind:     hidden_block_count_z
      - .offset:         92
        .size:           2
        .value_kind:     hidden_group_size_x
      - .offset:         94
        .size:           2
        .value_kind:     hidden_group_size_y
      - .offset:         96
        .size:           2
        .value_kind:     hidden_group_size_z
      - .offset:         98
        .size:           2
        .value_kind:     hidden_remainder_x
      - .offset:         100
        .size:           2
        .value_kind:     hidden_remainder_y
      - .offset:         102
        .size:           2
        .value_kind:     hidden_remainder_z
      - .offset:         120
        .size:           8
        .value_kind:     hidden_global_offset_x
      - .offset:         128
        .size:           8
        .value_kind:     hidden_global_offset_y
      - .offset:         136
        .size:           8
        .value_kind:     hidden_global_offset_z
      - .offset:         144
        .size:           2
        .value_kind:     hidden_grid_dims
    .group_segment_fixed_size: 26624
    .kernarg_segment_align: 8
    .kernarg_segment_size: 336
    .language:       OpenCL C
    .language_version:
      - 2
      - 0
    .max_flat_workgroup_size: 256
    .name:           _ZN7rocprim17ROCPRIM_304000_NS6detail25onesweep_iteration_kernelINS1_34wrapped_radix_sort_onesweep_configINS0_14default_configEtN2at4cuda3cub6detail10OpaqueTypeILi8EEEEELb1EPtSC_PSA_SD_mNS0_19identity_decomposerEEEvT1_T2_T3_T4_jPT5_SK_PNS1_23onesweep_lookback_stateET6_jjj
    .private_segment_fixed_size: 0
    .sgpr_count:     79
    .sgpr_spill_count: 0
    .symbol:         _ZN7rocprim17ROCPRIM_304000_NS6detail25onesweep_iteration_kernelINS1_34wrapped_radix_sort_onesweep_configINS0_14default_configEtN2at4cuda3cub6detail10OpaqueTypeILi8EEEEELb1EPtSC_PSA_SD_mNS0_19identity_decomposerEEEvT1_T2_T3_T4_jPT5_SK_PNS1_23onesweep_lookback_stateET6_jjj.kd
    .uniform_work_group_size: 1
    .uses_dynamic_stack: false
    .vgpr_count:     66
    .vgpr_spill_count: 0
    .wavefront_size: 64
  - .args:
      - .address_space:  global
        .offset:         0
        .size:           8
        .value_kind:     global_buffer
      - .address_space:  global
        .offset:         8
        .size:           8
        .value_kind:     global_buffer
      - .address_space:  global
        .offset:         16
        .size:           8
        .value_kind:     global_buffer
      - .address_space:  global
        .offset:         24
        .size:           8
        .value_kind:     global_buffer
      - .offset:         32
        .size:           4
        .value_kind:     by_value
      - .offset:         36
        .size:           1
        .value_kind:     by_value
      - .offset:         40
        .size:           4
        .value_kind:     by_value
      - .offset:         44
        .size:           4
        .value_kind:     by_value
      - .offset:         48
        .size:           4
        .value_kind:     hidden_block_count_x
      - .offset:         52
        .size:           4
        .value_kind:     hidden_block_count_y
      - .offset:         56
        .size:           4
        .value_kind:     hidden_block_count_z
      - .offset:         60
        .size:           2
        .value_kind:     hidden_group_size_x
      - .offset:         62
        .size:           2
        .value_kind:     hidden_group_size_y
      - .offset:         64
        .size:           2
        .value_kind:     hidden_group_size_z
      - .offset:         66
        .size:           2
        .value_kind:     hidden_remainder_x
      - .offset:         68
        .size:           2
        .value_kind:     hidden_remainder_y
      - .offset:         70
        .size:           2
        .value_kind:     hidden_remainder_z
      - .offset:         88
        .size:           8
        .value_kind:     hidden_global_offset_x
      - .offset:         96
        .size:           8
        .value_kind:     hidden_global_offset_y
      - .offset:         104
        .size:           8
        .value_kind:     hidden_global_offset_z
      - .offset:         112
        .size:           2
        .value_kind:     hidden_grid_dims
    .group_segment_fixed_size: 8192
    .kernarg_segment_align: 8
    .kernarg_segment_size: 304
    .language:       OpenCL C
    .language_version:
      - 2
      - 0
    .max_flat_workgroup_size: 256
    .name:           _ZN7rocprim17ROCPRIM_304000_NS6detail28radix_sort_block_sort_kernelINS1_36wrapped_radix_sort_block_sort_configINS0_13kernel_configILj256ELj4ELj4294967295EEEtN2at4cuda3cub6detail10OpaqueTypeILi8EEEEELb0EPKtPtPKSB_PSB_NS0_19identity_decomposerEEEvT1_T2_T3_T4_jT5_jj
    .private_segment_fixed_size: 0
    .sgpr_count:     52
    .sgpr_spill_count: 0
    .symbol:         _ZN7rocprim17ROCPRIM_304000_NS6detail28radix_sort_block_sort_kernelINS1_36wrapped_radix_sort_block_sort_configINS0_13kernel_configILj256ELj4ELj4294967295EEEtN2at4cuda3cub6detail10OpaqueTypeILi8EEEEELb0EPKtPtPKSB_PSB_NS0_19identity_decomposerEEEvT1_T2_T3_T4_jT5_jj.kd
    .uniform_work_group_size: 1
    .uses_dynamic_stack: false
    .vgpr_count:     50
    .vgpr_spill_count: 0
    .wavefront_size: 64
  - .args:
      - .address_space:  global
        .offset:         0
        .size:           8
        .value_kind:     global_buffer
      - .offset:         8
        .size:           4
        .value_kind:     by_value
      - .offset:         12
        .size:           4
        .value_kind:     by_value
      - .address_space:  global
        .offset:         16
        .size:           8
        .value_kind:     global_buffer
      - .offset:         24
        .size:           1
        .value_kind:     by_value
      - .offset:         28
        .size:           4
        .value_kind:     by_value
    .group_segment_fixed_size: 0
    .kernarg_segment_align: 8
    .kernarg_segment_size: 32
    .language:       OpenCL C
    .language_version:
      - 2
      - 0
    .max_flat_workgroup_size: 128
    .name:           _ZN7rocprim17ROCPRIM_304000_NS6detail45device_block_merge_mergepath_partition_kernelINS1_37wrapped_merge_sort_block_merge_configINS0_14default_configEtN2at4cuda3cub6detail10OpaqueTypeILi8EEEEEPtjNS1_19radix_merge_compareILb0ELb0EtNS0_19identity_decomposerEEEEEvT0_T1_jPSH_T2_SH_
    .private_segment_fixed_size: 0
    .sgpr_count:     11
    .sgpr_spill_count: 0
    .symbol:         _ZN7rocprim17ROCPRIM_304000_NS6detail45device_block_merge_mergepath_partition_kernelINS1_37wrapped_merge_sort_block_merge_configINS0_14default_configEtN2at4cuda3cub6detail10OpaqueTypeILi8EEEEEPtjNS1_19radix_merge_compareILb0ELb0EtNS0_19identity_decomposerEEEEEvT0_T1_jPSH_T2_SH_.kd
    .uniform_work_group_size: 1
    .uses_dynamic_stack: false
    .vgpr_count:     15
    .vgpr_spill_count: 0
    .wavefront_size: 64
  - .args:
      - .address_space:  global
        .offset:         0
        .size:           8
        .value_kind:     global_buffer
      - .address_space:  global
        .offset:         8
        .size:           8
        .value_kind:     global_buffer
      - .address_space:  global
        .offset:         16
        .size:           8
        .value_kind:     global_buffer
      - .address_space:  global
        .offset:         24
        .size:           8
        .value_kind:     global_buffer
      - .offset:         32
        .size:           4
        .value_kind:     by_value
      - .offset:         36
        .size:           4
        .value_kind:     by_value
      - .offset:         40
        .size:           4
        .value_kind:     by_value
      - .offset:         44
        .size:           1
        .value_kind:     by_value
      - .address_space:  global
        .offset:         48
        .size:           8
        .value_kind:     global_buffer
      - .address_space:  global
        .offset:         56
        .size:           8
        .value_kind:     global_buffer
      - .offset:         64
        .size:           4
        .value_kind:     hidden_block_count_x
      - .offset:         68
        .size:           4
        .value_kind:     hidden_block_count_y
      - .offset:         72
        .size:           4
        .value_kind:     hidden_block_count_z
      - .offset:         76
        .size:           2
        .value_kind:     hidden_group_size_x
      - .offset:         78
        .size:           2
        .value_kind:     hidden_group_size_y
      - .offset:         80
        .size:           2
        .value_kind:     hidden_group_size_z
      - .offset:         82
        .size:           2
        .value_kind:     hidden_remainder_x
      - .offset:         84
        .size:           2
        .value_kind:     hidden_remainder_y
      - .offset:         86
        .size:           2
        .value_kind:     hidden_remainder_z
      - .offset:         104
        .size:           8
        .value_kind:     hidden_global_offset_x
      - .offset:         112
        .size:           8
        .value_kind:     hidden_global_offset_y
      - .offset:         120
        .size:           8
        .value_kind:     hidden_global_offset_z
      - .offset:         128
        .size:           2
        .value_kind:     hidden_grid_dims
    .group_segment_fixed_size: 8208
    .kernarg_segment_align: 8
    .kernarg_segment_size: 320
    .language:       OpenCL C
    .language_version:
      - 2
      - 0
    .max_flat_workgroup_size: 128
    .name:           _ZN7rocprim17ROCPRIM_304000_NS6detail35device_block_merge_mergepath_kernelINS1_37wrapped_merge_sort_block_merge_configINS0_14default_configEtN2at4cuda3cub6detail10OpaqueTypeILi8EEEEEPtSC_PSA_SD_jNS1_19radix_merge_compareILb0ELb0EtNS0_19identity_decomposerEEEEEvT0_T1_T2_T3_T4_SL_jT5_PKSL_NS1_7vsmem_tE
    .private_segment_fixed_size: 0
    .sgpr_count:     38
    .sgpr_spill_count: 0
    .symbol:         _ZN7rocprim17ROCPRIM_304000_NS6detail35device_block_merge_mergepath_kernelINS1_37wrapped_merge_sort_block_merge_configINS0_14default_configEtN2at4cuda3cub6detail10OpaqueTypeILi8EEEEEPtSC_PSA_SD_jNS1_19radix_merge_compareILb0ELb0EtNS0_19identity_decomposerEEEEEvT0_T1_T2_T3_T4_SL_jT5_PKSL_NS1_7vsmem_tE.kd
    .uniform_work_group_size: 1
    .uses_dynamic_stack: false
    .vgpr_count:     34
    .vgpr_spill_count: 0
    .wavefront_size: 64
  - .args:
      - .address_space:  global
        .offset:         0
        .size:           8
        .value_kind:     global_buffer
      - .address_space:  global
        .offset:         8
        .size:           8
        .value_kind:     global_buffer
      - .address_space:  global
        .offset:         16
        .size:           8
        .value_kind:     global_buffer
      - .address_space:  global
        .offset:         24
        .size:           8
        .value_kind:     global_buffer
      - .offset:         32
        .size:           4
        .value_kind:     by_value
      - .offset:         36
        .size:           4
        .value_kind:     by_value
      - .offset:         40
        .size:           1
        .value_kind:     by_value
    .group_segment_fixed_size: 0
    .kernarg_segment_align: 8
    .kernarg_segment_size: 44
    .language:       OpenCL C
    .language_version:
      - 2
      - 0
    .max_flat_workgroup_size: 256
    .name:           _ZN7rocprim17ROCPRIM_304000_NS6detail33device_block_merge_oddeven_kernelINS1_37wrapped_merge_sort_block_merge_configINS0_14default_configEtN2at4cuda3cub6detail10OpaqueTypeILi8EEEEEPtSC_PSA_SD_jNS1_19radix_merge_compareILb0ELb0EtNS0_19identity_decomposerEEEEEvT0_T1_T2_T3_T4_SL_T5_
    .private_segment_fixed_size: 0
    .sgpr_count:     26
    .sgpr_spill_count: 0
    .symbol:         _ZN7rocprim17ROCPRIM_304000_NS6detail33device_block_merge_oddeven_kernelINS1_37wrapped_merge_sort_block_merge_configINS0_14default_configEtN2at4cuda3cub6detail10OpaqueTypeILi8EEEEEPtSC_PSA_SD_jNS1_19radix_merge_compareILb0ELb0EtNS0_19identity_decomposerEEEEEvT0_T1_T2_T3_T4_SL_T5_.kd
    .uniform_work_group_size: 1
    .uses_dynamic_stack: false
    .vgpr_count:     10
    .vgpr_spill_count: 0
    .wavefront_size: 64
  - .args:
      - .address_space:  global
        .offset:         0
        .size:           8
        .value_kind:     global_buffer
      - .offset:         8
        .size:           4
        .value_kind:     by_value
      - .offset:         12
        .size:           4
        .value_kind:     by_value
      - .address_space:  global
        .offset:         16
        .size:           8
        .value_kind:     global_buffer
      - .offset:         24
        .size:           2
        .value_kind:     by_value
      - .offset:         28
        .size:           4
        .value_kind:     by_value
    .group_segment_fixed_size: 0
    .kernarg_segment_align: 8
    .kernarg_segment_size: 32
    .language:       OpenCL C
    .language_version:
      - 2
      - 0
    .max_flat_workgroup_size: 128
    .name:           _ZN7rocprim17ROCPRIM_304000_NS6detail45device_block_merge_mergepath_partition_kernelINS1_37wrapped_merge_sort_block_merge_configINS0_14default_configEtN2at4cuda3cub6detail10OpaqueTypeILi8EEEEEPtjNS1_19radix_merge_compareILb0ELb1EtNS0_19identity_decomposerEEEEEvT0_T1_jPSH_T2_SH_
    .private_segment_fixed_size: 0
    .sgpr_count:     12
    .sgpr_spill_count: 0
    .symbol:         _ZN7rocprim17ROCPRIM_304000_NS6detail45device_block_merge_mergepath_partition_kernelINS1_37wrapped_merge_sort_block_merge_configINS0_14default_configEtN2at4cuda3cub6detail10OpaqueTypeILi8EEEEEPtjNS1_19radix_merge_compareILb0ELb1EtNS0_19identity_decomposerEEEEEvT0_T1_jPSH_T2_SH_.kd
    .uniform_work_group_size: 1
    .uses_dynamic_stack: false
    .vgpr_count:     15
    .vgpr_spill_count: 0
    .wavefront_size: 64
  - .args:
      - .address_space:  global
        .offset:         0
        .size:           8
        .value_kind:     global_buffer
      - .address_space:  global
        .offset:         8
        .size:           8
        .value_kind:     global_buffer
      - .address_space:  global
        .offset:         16
        .size:           8
        .value_kind:     global_buffer
      - .address_space:  global
        .offset:         24
        .size:           8
        .value_kind:     global_buffer
      - .offset:         32
        .size:           4
        .value_kind:     by_value
      - .offset:         36
        .size:           4
        .value_kind:     by_value
      - .offset:         40
        .size:           4
        .value_kind:     by_value
      - .offset:         44
        .size:           2
        .value_kind:     by_value
      - .address_space:  global
        .offset:         48
        .size:           8
        .value_kind:     global_buffer
      - .address_space:  global
        .offset:         56
        .size:           8
        .value_kind:     global_buffer
      - .offset:         64
        .size:           4
        .value_kind:     hidden_block_count_x
      - .offset:         68
        .size:           4
        .value_kind:     hidden_block_count_y
      - .offset:         72
        .size:           4
        .value_kind:     hidden_block_count_z
      - .offset:         76
        .size:           2
        .value_kind:     hidden_group_size_x
      - .offset:         78
        .size:           2
        .value_kind:     hidden_group_size_y
      - .offset:         80
        .size:           2
        .value_kind:     hidden_group_size_z
      - .offset:         82
        .size:           2
        .value_kind:     hidden_remainder_x
      - .offset:         84
        .size:           2
        .value_kind:     hidden_remainder_y
      - .offset:         86
        .size:           2
        .value_kind:     hidden_remainder_z
      - .offset:         104
        .size:           8
        .value_kind:     hidden_global_offset_x
      - .offset:         112
        .size:           8
        .value_kind:     hidden_global_offset_y
      - .offset:         120
        .size:           8
        .value_kind:     hidden_global_offset_z
      - .offset:         128
        .size:           2
        .value_kind:     hidden_grid_dims
    .group_segment_fixed_size: 8208
    .kernarg_segment_align: 8
    .kernarg_segment_size: 320
    .language:       OpenCL C
    .language_version:
      - 2
      - 0
    .max_flat_workgroup_size: 128
    .name:           _ZN7rocprim17ROCPRIM_304000_NS6detail35device_block_merge_mergepath_kernelINS1_37wrapped_merge_sort_block_merge_configINS0_14default_configEtN2at4cuda3cub6detail10OpaqueTypeILi8EEEEEPtSC_PSA_SD_jNS1_19radix_merge_compareILb0ELb1EtNS0_19identity_decomposerEEEEEvT0_T1_T2_T3_T4_SL_jT5_PKSL_NS1_7vsmem_tE
    .private_segment_fixed_size: 0
    .sgpr_count:     39
    .sgpr_spill_count: 0
    .symbol:         _ZN7rocprim17ROCPRIM_304000_NS6detail35device_block_merge_mergepath_kernelINS1_37wrapped_merge_sort_block_merge_configINS0_14default_configEtN2at4cuda3cub6detail10OpaqueTypeILi8EEEEEPtSC_PSA_SD_jNS1_19radix_merge_compareILb0ELb1EtNS0_19identity_decomposerEEEEEvT0_T1_T2_T3_T4_SL_jT5_PKSL_NS1_7vsmem_tE.kd
    .uniform_work_group_size: 1
    .uses_dynamic_stack: false
    .vgpr_count:     34
    .vgpr_spill_count: 0
    .wavefront_size: 64
  - .args:
      - .address_space:  global
        .offset:         0
        .size:           8
        .value_kind:     global_buffer
      - .address_space:  global
        .offset:         8
        .size:           8
        .value_kind:     global_buffer
      - .address_space:  global
        .offset:         16
        .size:           8
        .value_kind:     global_buffer
      - .address_space:  global
        .offset:         24
        .size:           8
        .value_kind:     global_buffer
      - .offset:         32
        .size:           4
        .value_kind:     by_value
      - .offset:         36
        .size:           4
        .value_kind:     by_value
      - .offset:         40
        .size:           2
        .value_kind:     by_value
    .group_segment_fixed_size: 0
    .kernarg_segment_align: 8
    .kernarg_segment_size: 44
    .language:       OpenCL C
    .language_version:
      - 2
      - 0
    .max_flat_workgroup_size: 256
    .name:           _ZN7rocprim17ROCPRIM_304000_NS6detail33device_block_merge_oddeven_kernelINS1_37wrapped_merge_sort_block_merge_configINS0_14default_configEtN2at4cuda3cub6detail10OpaqueTypeILi8EEEEEPtSC_PSA_SD_jNS1_19radix_merge_compareILb0ELb1EtNS0_19identity_decomposerEEEEEvT0_T1_T2_T3_T4_SL_T5_
    .private_segment_fixed_size: 0
    .sgpr_count:     28
    .sgpr_spill_count: 0
    .symbol:         _ZN7rocprim17ROCPRIM_304000_NS6detail33device_block_merge_oddeven_kernelINS1_37wrapped_merge_sort_block_merge_configINS0_14default_configEtN2at4cuda3cub6detail10OpaqueTypeILi8EEEEEPtSC_PSA_SD_jNS1_19radix_merge_compareILb0ELb1EtNS0_19identity_decomposerEEEEEvT0_T1_T2_T3_T4_SL_T5_.kd
    .uniform_work_group_size: 1
    .uses_dynamic_stack: false
    .vgpr_count:     11
    .vgpr_spill_count: 0
    .wavefront_size: 64
  - .args:
      - .address_space:  global
        .offset:         0
        .size:           8
        .value_kind:     global_buffer
      - .address_space:  global
        .offset:         8
        .size:           8
        .value_kind:     global_buffer
      - .offset:         16
        .size:           8
        .value_kind:     by_value
      - .offset:         24
        .size:           8
        .value_kind:     by_value
      - .offset:         32
        .size:           1
        .value_kind:     by_value
      - .offset:         36
        .size:           4
        .value_kind:     by_value
      - .offset:         40
        .size:           4
        .value_kind:     by_value
    .group_segment_fixed_size: 8192
    .kernarg_segment_align: 8
    .kernarg_segment_size: 44
    .language:       OpenCL C
    .language_version:
      - 2
      - 0
    .max_flat_workgroup_size: 256
    .name:           _ZN7rocprim17ROCPRIM_304000_NS6detail26onesweep_histograms_kernelINS1_34wrapped_radix_sort_onesweep_configINS0_14default_configEtN2at4cuda3cub6detail10OpaqueTypeILi8EEEEELb0EPKtmNS0_19identity_decomposerEEEvT1_PT2_SG_SG_T3_jj
    .private_segment_fixed_size: 0
    .sgpr_count:     43
    .sgpr_spill_count: 0
    .symbol:         _ZN7rocprim17ROCPRIM_304000_NS6detail26onesweep_histograms_kernelINS1_34wrapped_radix_sort_onesweep_configINS0_14default_configEtN2at4cuda3cub6detail10OpaqueTypeILi8EEEEELb0EPKtmNS0_19identity_decomposerEEEvT1_PT2_SG_SG_T3_jj.kd
    .uniform_work_group_size: 1
    .uses_dynamic_stack: false
    .vgpr_count:     24
    .vgpr_spill_count: 0
    .wavefront_size: 64
  - .args:
      - .address_space:  global
        .offset:         0
        .size:           8
        .value_kind:     global_buffer
      - .address_space:  global
        .offset:         8
        .size:           8
        .value_kind:     global_buffer
      - .address_space:  global
        .offset:         16
        .size:           8
        .value_kind:     global_buffer
      - .address_space:  global
        .offset:         24
        .size:           8
        .value_kind:     global_buffer
      - .offset:         32
        .size:           4
        .value_kind:     by_value
      - .address_space:  global
        .offset:         40
        .size:           8
        .value_kind:     global_buffer
      - .address_space:  global
        .offset:         48
        .size:           8
        .value_kind:     global_buffer
      - .address_space:  global
        .offset:         56
        .size:           8
        .value_kind:     global_buffer
      - .offset:         64
        .size:           1
        .value_kind:     by_value
      - .offset:         68
        .size:           4
        .value_kind:     by_value
      - .offset:         72
        .size:           4
        .value_kind:     by_value
      - .offset:         76
        .size:           4
        .value_kind:     by_value
      - .offset:         80
        .size:           4
        .value_kind:     hidden_block_count_x
      - .offset:         84
        .size:           4
        .value_kind:     hidden_block_count_y
      - .offset:         88
        .size:           4
        .value_kind:     hidden_block_count_z
      - .offset:         92
        .size:           2
        .value_kind:     hidden_group_size_x
      - .offset:         94
        .size:           2
        .value_kind:     hidden_group_size_y
      - .offset:         96
        .size:           2
        .value_kind:     hidden_group_size_z
      - .offset:         98
        .size:           2
        .value_kind:     hidden_remainder_x
      - .offset:         100
        .size:           2
        .value_kind:     hidden_remainder_y
      - .offset:         102
        .size:           2
        .value_kind:     hidden_remainder_z
      - .offset:         120
        .size:           8
        .value_kind:     hidden_global_offset_x
      - .offset:         128
        .size:           8
        .value_kind:     hidden_global_offset_y
      - .offset:         136
        .size:           8
        .value_kind:     hidden_global_offset_z
      - .offset:         144
        .size:           2
        .value_kind:     hidden_grid_dims
    .group_segment_fixed_size: 26624
    .kernarg_segment_align: 8
    .kernarg_segment_size: 336
    .language:       OpenCL C
    .language_version:
      - 2
      - 0
    .max_flat_workgroup_size: 256
    .name:           _ZN7rocprim17ROCPRIM_304000_NS6detail25onesweep_iteration_kernelINS1_34wrapped_radix_sort_onesweep_configINS0_14default_configEtN2at4cuda3cub6detail10OpaqueTypeILi8EEEEELb0EPKtPtPKSA_PSA_mNS0_19identity_decomposerEEEvT1_T2_T3_T4_jPT5_SO_PNS1_23onesweep_lookback_stateET6_jjj
    .private_segment_fixed_size: 0
    .sgpr_count:     79
    .sgpr_spill_count: 0
    .symbol:         _ZN7rocprim17ROCPRIM_304000_NS6detail25onesweep_iteration_kernelINS1_34wrapped_radix_sort_onesweep_configINS0_14default_configEtN2at4cuda3cub6detail10OpaqueTypeILi8EEEEELb0EPKtPtPKSA_PSA_mNS0_19identity_decomposerEEEvT1_T2_T3_T4_jPT5_SO_PNS1_23onesweep_lookback_stateET6_jjj.kd
    .uniform_work_group_size: 1
    .uses_dynamic_stack: false
    .vgpr_count:     65
    .vgpr_spill_count: 0
    .wavefront_size: 64
  - .args:
      - .address_space:  global
        .offset:         0
        .size:           8
        .value_kind:     global_buffer
      - .address_space:  global
        .offset:         8
        .size:           8
        .value_kind:     global_buffer
      - .address_space:  global
        .offset:         16
        .size:           8
        .value_kind:     global_buffer
      - .address_space:  global
        .offset:         24
        .size:           8
        .value_kind:     global_buffer
      - .offset:         32
        .size:           4
        .value_kind:     by_value
      - .address_space:  global
        .offset:         40
        .size:           8
        .value_kind:     global_buffer
      - .address_space:  global
        .offset:         48
        .size:           8
        .value_kind:     global_buffer
      - .address_space:  global
        .offset:         56
        .size:           8
        .value_kind:     global_buffer
      - .offset:         64
        .size:           1
        .value_kind:     by_value
      - .offset:         68
        .size:           4
        .value_kind:     by_value
      - .offset:         72
        .size:           4
        .value_kind:     by_value
      - .offset:         76
        .size:           4
        .value_kind:     by_value
      - .offset:         80
        .size:           4
        .value_kind:     hidden_block_count_x
      - .offset:         84
        .size:           4
        .value_kind:     hidden_block_count_y
      - .offset:         88
        .size:           4
        .value_kind:     hidden_block_count_z
      - .offset:         92
        .size:           2
        .value_kind:     hidden_group_size_x
      - .offset:         94
        .size:           2
        .value_kind:     hidden_group_size_y
      - .offset:         96
        .size:           2
        .value_kind:     hidden_group_size_z
      - .offset:         98
        .size:           2
        .value_kind:     hidden_remainder_x
      - .offset:         100
        .size:           2
        .value_kind:     hidden_remainder_y
      - .offset:         102
        .size:           2
        .value_kind:     hidden_remainder_z
      - .offset:         120
        .size:           8
        .value_kind:     hidden_global_offset_x
      - .offset:         128
        .size:           8
        .value_kind:     hidden_global_offset_y
      - .offset:         136
        .size:           8
        .value_kind:     hidden_global_offset_z
      - .offset:         144
        .size:           2
        .value_kind:     hidden_grid_dims
    .group_segment_fixed_size: 26624
    .kernarg_segment_align: 8
    .kernarg_segment_size: 336
    .language:       OpenCL C
    .language_version:
      - 2
      - 0
    .max_flat_workgroup_size: 256
    .name:           _ZN7rocprim17ROCPRIM_304000_NS6detail25onesweep_iteration_kernelINS1_34wrapped_radix_sort_onesweep_configINS0_14default_configEtN2at4cuda3cub6detail10OpaqueTypeILi8EEEEELb0EPtSC_PSA_SD_mNS0_19identity_decomposerEEEvT1_T2_T3_T4_jPT5_SK_PNS1_23onesweep_lookback_stateET6_jjj
    .private_segment_fixed_size: 0
    .sgpr_count:     79
    .sgpr_spill_count: 0
    .symbol:         _ZN7rocprim17ROCPRIM_304000_NS6detail25onesweep_iteration_kernelINS1_34wrapped_radix_sort_onesweep_configINS0_14default_configEtN2at4cuda3cub6detail10OpaqueTypeILi8EEEEELb0EPtSC_PSA_SD_mNS0_19identity_decomposerEEEvT1_T2_T3_T4_jPT5_SK_PNS1_23onesweep_lookback_stateET6_jjj.kd
    .uniform_work_group_size: 1
    .uses_dynamic_stack: false
    .vgpr_count:     65
    .vgpr_spill_count: 0
    .wavefront_size: 64
amdhsa.target:   amdgcn-amd-amdhsa--gfx906
amdhsa.version:
  - 1
  - 2
...

	.end_amdgpu_metadata
